;; amdgpu-corpus repo=ROCm/rocFFT kind=compiled arch=gfx950 opt=O3
	.text
	.amdgcn_target "amdgcn-amd-amdhsa--gfx950"
	.amdhsa_code_object_version 6
	.protected	bluestein_single_fwd_len1925_dim1_sp_op_CI_CI ; -- Begin function bluestein_single_fwd_len1925_dim1_sp_op_CI_CI
	.globl	bluestein_single_fwd_len1925_dim1_sp_op_CI_CI
	.p2align	8
	.type	bluestein_single_fwd_len1925_dim1_sp_op_CI_CI,@function
bluestein_single_fwd_len1925_dim1_sp_op_CI_CI: ; @bluestein_single_fwd_len1925_dim1_sp_op_CI_CI
; %bb.0:
	s_load_dwordx4 s[12:15], s[0:1], 0x28
	v_mul_u32_u24_e32 v1, 0x4a8, v0
	v_mov_b32_e32 v37, 0
	v_add_u32_sdwa v6, s2, v1 dst_sel:DWORD dst_unused:UNUSED_PAD src0_sel:DWORD src1_sel:WORD_1
	v_mov_b32_e32 v7, v37
	s_waitcnt lgkmcnt(0)
	v_cmp_gt_u64_e32 vcc, s[12:13], v[6:7]
	s_and_saveexec_b64 s[2:3], vcc
	s_cbranch_execz .LBB0_10
; %bb.1:
	s_load_dwordx4 s[4:7], s[0:1], 0x18
	s_load_dwordx4 s[8:11], s[0:1], 0x0
	v_mov_b32_e32 v2, s14
	v_mov_b32_e32 v3, s15
	;; [unrolled: 1-line block ×3, first 2 shown]
	s_waitcnt lgkmcnt(0)
	s_load_dwordx4 s[12:15], s[4:5], 0x0
	v_mul_lo_u16_sdwa v1, v1, v4 dst_sel:DWORD dst_unused:UNUSED_PAD src0_sel:WORD_1 src1_sel:DWORD
	v_sub_u16_e32 v36, v0, v1
	v_accvgpr_write_b32 a59, v37            ;  Reload Reuse
	v_accvgpr_write_b32 a18, v6
	s_waitcnt lgkmcnt(0)
	v_mad_u64_u32 v[0:1], s[2:3], s14, v6, 0
	v_mov_b32_e32 v4, v1
	v_mad_u64_u32 v[4:5], s[2:3], s15, v6, v[4:5]
	v_mov_b32_e32 v1, v4
	v_mad_u64_u32 v[4:5], s[2:3], s12, v36, 0
	v_mov_b32_e32 v6, v5
	v_mad_u64_u32 v[6:7], s[2:3], s13, v36, v[6:7]
	v_mov_b32_e32 v5, v6
	v_lshl_add_u64 v[0:1], v[0:1], 3, v[2:3]
	v_accvgpr_write_b32 a61, v36            ;  Reload Reuse
	v_lshl_add_u64 v[2:3], v[4:5], 3, v[0:1]
	v_lshlrev_b32_e32 v36, 3, v36
	global_load_dwordx2 v[0:1], v[2:3], off
	global_load_dwordx2 v[30:31], v36, s[8:9]
	v_mov_b32_e32 v8, 0x898
	v_mad_u64_u32 v[4:5], s[2:3], s12, v8, v[2:3]
	s_mul_i32 s2, s13, 0x898
	s_nop 0
	v_add_u32_e32 v5, s2, v5
	global_load_dwordx2 v[2:3], v[4:5], off
	global_load_dwordx2 v[38:39], v36, s[8:9] offset:2200
	s_movk_i32 s15, 0x1000
	v_lshl_add_u64 v[6:7], s[8:9], 0, v[36:37]
	v_add_co_u32_e32 v10, vcc, s15, v6
	v_mad_u64_u32 v[12:13], s[16:17], s12, v8, v[4:5]
	s_nop 0
	v_addc_co_u32_e32 v11, vcc, 0, v7, vcc
	s_load_dwordx4 s[4:7], s[6:7], 0x0
	global_load_dwordx2 v[48:49], v36, s[8:9] offset:2640
	global_load_dwordx2 v[44:45], v36, s[8:9] offset:3080
	;; [unrolled: 1-line block ×5, first 2 shown]
	global_load_dwordx2 v[54:55], v[10:11], off offset:304
	v_add_u32_e32 v13, s2, v13
	global_load_dwordx2 v[14:15], v[12:13], off
	global_load_dwordx2 v[50:51], v36, s[8:9] offset:1760
	s_movk_i32 s3, 0x2000
	v_add_co_u32_e32 v16, vcc, s3, v6
	s_movk_i32 s14, 0x3000
	s_nop 0
	v_addc_co_u32_e32 v17, vcc, 0, v7, vcc
	v_add_co_u32_e32 v4, vcc, s14, v6
	global_load_dwordx2 v[62:63], v[10:11], off offset:2504
	global_load_dwordx2 v[64:65], v[16:17], off offset:608
	v_addc_co_u32_e32 v5, vcc, 0, v7, vcc
	v_mad_u64_u32 v[6:7], s[14:15], s12, v8, v[12:13]
	v_add_u32_e32 v7, s2, v7
	global_load_dwordx2 v[12:13], v[6:7], off
	global_load_dwordx2 v[70:71], v[16:17], off offset:2808
	global_load_dwordx2 v[88:89], v[4:5], off offset:912
	v_mad_u64_u32 v[6:7], s[14:15], s12, v8, v[6:7]
	v_add_u32_e32 v7, s2, v7
	global_load_dwordx2 v[18:19], v[6:7], off
	v_mad_u64_u32 v[6:7], s[14:15], s12, v8, v[6:7]
	v_add_u32_e32 v7, s2, v7
	global_load_dwordx2 v[20:21], v[6:7], off
	;; [unrolled: 3-line block ×3, first 2 shown]
	v_mov_b32_e32 v9, 0xffffce28
	s_mul_i32 s3, s13, 0xffffce28
	s_sub_i32 s3, s3, s12
	v_mad_u64_u32 v[6:7], s[14:15], s12, v9, v[6:7]
	v_add_u32_e32 v7, s3, v7
	global_load_dwordx2 v[24:25], v[6:7], off
	v_mad_u64_u32 v[6:7], s[14:15], s12, v8, v[6:7]
	v_add_u32_e32 v7, s2, v7
	global_load_dwordx2 v[26:27], v[6:7], off
	v_mad_u64_u32 v[6:7], s[14:15], s12, v8, v[6:7]
	v_add_u32_e32 v7, s2, v7
	v_add_u32_e32 v37, 0x1000, v36
	s_mov_b32 s16, 0xbf08b237
	s_mov_b32 s22, 0x3f4a47b2
	;; [unrolled: 1-line block ×6, first 2 shown]
                                        ; implicit-def: $vgpr182
                                        ; implicit-def: $vgpr178
                                        ; implicit-def: $vgpr168
                                        ; implicit-def: $vgpr166
                                        ; implicit-def: $vgpr116
                                        ; implicit-def: $vgpr118
                                        ; implicit-def: $vgpr184
	s_waitcnt vmcnt(20)
	v_mul_f32_e32 v28, v1, v31
	v_mul_f32_e32 v29, v0, v31
	v_fmac_f32_e32 v28, v0, v30
	v_accvgpr_write_b32 a63, v31            ;  Reload Reuse
	v_accvgpr_write_b32 a65, v30            ;  Reload Reuse
	v_fma_f32 v29, v1, v30, -v29
	global_load_dwordx2 v[30:31], v[6:7], off
	global_load_dwordx2 v[86:87], v[10:11], off offset:744
	v_mad_u64_u32 v[6:7], s[14:15], s12, v8, v[6:7]
	v_add_u32_e32 v7, s2, v7
	s_waitcnt vmcnt(20)
	v_mul_f32_e32 v0, v3, v39
	global_load_dwordx2 v[32:33], v[6:7], off
	global_load_dwordx2 v[78:79], v[10:11], off offset:2944
	v_mad_u64_u32 v[6:7], s[14:15], s12, v8, v[6:7]
	v_mul_f32_e32 v1, v2, v39
	v_add_u32_e32 v7, s2, v7
	v_fmac_f32_e32 v0, v2, v38
	v_accvgpr_write_b32 a67, v39            ;  Reload Reuse
	v_fma_f32 v1, v3, v38, -v1
	global_load_dwordx2 v[34:35], v[6:7], off
	global_load_dwordx2 v[66:67], v[16:17], off offset:1048
	ds_write_b64 v36, v[0:1] offset:2200
	v_mad_u64_u32 v[0:1], s[14:15], s12, v8, v[6:7]
	v_add_u32_e32 v1, s2, v1
	global_load_dwordx2 v[2:3], v[0:1], off
	global_load_dwordx2 v[80:81], v[16:17], off offset:3248
	v_mad_u64_u32 v[0:1], s[14:15], s12, v8, v[0:1]
	v_add_u32_e32 v1, s2, v1
	global_load_dwordx2 v[6:7], v[0:1], off
	global_load_dwordx2 v[72:73], v[4:5], off offset:1352
	v_mad_u64_u32 v[0:1], s[14:15], s12, v9, v[0:1]
	v_add_u32_e32 v1, s3, v1
	v_accvgpr_write_b32 a69, v38            ;  Reload Reuse
	global_load_dwordx2 v[38:39], v[0:1], off
	global_load_dwordx2 v[60:61], v[10:11], off offset:1184
	global_load_dwordx2 v[68:69], v[10:11], off offset:1624
	v_mad_u64_u32 v[0:1], s[14:15], s12, v8, v[0:1]
	v_add_u32_e32 v1, s2, v1
	global_load_dwordx2 v[42:43], v[0:1], off
	s_waitcnt vmcnt(25)
	v_mul_f32_e32 v40, v15, v55
	v_fmac_f32_e32 v40, v14, v54
	v_mul_f32_e32 v14, v14, v55
	v_accvgpr_write_b32 a71, v55            ;  Reload Reuse
	v_fma_f32 v41, v15, v54, -v14
	v_mad_u64_u32 v[0:1], s[14:15], s12, v8, v[0:1]
	ds_write_b64 v36, v[40:41] offset:4400
	v_add_u32_e32 v1, s2, v1
	v_accvgpr_write_b32 a89, v54            ;  Reload Reuse
	global_load_dwordx2 v[14:15], v[0:1], off
	global_load_dwordx2 v[58:59], v[10:11], off offset:3384
	global_load_dwordx2 v[54:55], v[10:11], off offset:2064
	s_waitcnt vmcnt(24)
	v_mul_f32_e32 v40, v13, v63
	v_fmac_f32_e32 v40, v12, v62
	v_mul_f32_e32 v12, v12, v63
	v_accvgpr_write_b32 a143, v63           ;  Reload Reuse
	v_fma_f32 v41, v13, v62, -v12
	ds_write_b64 v36, v[40:41] offset:6600
	v_accvgpr_write_b32 a145, v62           ;  Reload Reuse
	global_load_dwordx2 v[74:75], v[10:11], off offset:3824
	global_load_dwordx2 v[62:63], v[16:17], off offset:168
	s_waitcnt vmcnt(23)
	v_mul_f32_e32 v10, v19, v65
	v_mul_f32_e32 v11, v18, v65
	v_fmac_f32_e32 v10, v18, v64
	v_accvgpr_write_b32 a147, v65           ;  Reload Reuse
	v_fma_f32 v11, v19, v64, -v11
	ds_write_b64 v36, v[10:11] offset:8800
	s_waitcnt vmcnt(22)
	v_mul_f32_e32 v10, v21, v71
	v_mul_f32_e32 v11, v20, v71
	v_fmac_f32_e32 v10, v20, v70
	v_accvgpr_write_b32 a157, v71           ;  Reload Reuse
	v_fma_f32 v11, v21, v70, -v11
	v_mad_u64_u32 v[0:1], s[14:15], s12, v8, v[0:1]
	v_accvgpr_write_b32 a155, v64           ;  Reload Reuse
	global_load_dwordx2 v[84:85], v[16:17], off offset:1488
	global_load_dwordx2 v[76:77], v[16:17], off offset:1928
	;; [unrolled: 1-line block ×3, first 2 shown]
	ds_write_b64 v36, v[10:11] offset:11000
	s_waitcnt vmcnt(24)
	v_mul_f32_e32 v10, v23, v89
	v_mul_f32_e32 v11, v22, v89
	v_add_u32_e32 v1, s2, v1
	v_accvgpr_write_b32 a159, v70           ;  Reload Reuse
	global_load_dwordx2 v[82:83], v[4:5], off offset:1792
	global_load_dwordx2 v[70:71], v[4:5], off offset:2232
	v_fmac_f32_e32 v10, v22, v88
	v_accvgpr_write_b32 a161, v89           ;  Reload Reuse
	v_fma_f32 v11, v23, v88, -v11
	global_load_dwordx2 v[22:23], v[0:1], off
	ds_write_b64 v36, v[10:11] offset:13200
	s_waitcnt vmcnt(26)
	v_mul_f32_e32 v10, v25, v57
	v_mul_f32_e32 v11, v24, v57
	v_fmac_f32_e32 v10, v24, v56
	v_accvgpr_write_b32 a165, v57           ;  Reload Reuse
	v_fma_f32 v11, v25, v56, -v11
	v_mad_u64_u32 v[0:1], s[14:15], s12, v8, v[0:1]
	ds_write2_b64 v36, v[28:29], v[10:11] offset1:55
	s_waitcnt vmcnt(21)
	v_mul_f32_e32 v18, v33, v79
	v_mul_f32_e32 v10, v27, v49
	;; [unrolled: 1-line block ×3, first 2 shown]
	v_fmac_f32_e32 v18, v32, v78
	v_mul_f32_e32 v19, v32, v79
	v_accvgpr_write_b32 a193, v79           ;  Reload Reuse
	v_add_u32_e32 v1, s2, v1
	v_accvgpr_write_b32 a163, v88           ;  Reload Reuse
	s_waitcnt vmcnt(19)
	v_mul_f32_e32 v20, v35, v67
	v_fmac_f32_e32 v20, v34, v66
	v_mul_f32_e32 v21, v34, v67
	v_accvgpr_write_b32 a203, v67           ;  Reload Reuse
	v_fmac_f32_e32 v10, v26, v48
	v_accvgpr_write_b32 a169, v49           ;  Reload Reuse
	v_fma_f32 v11, v27, v48, -v11
	v_accvgpr_write_b32 a199, v78           ;  Reload Reuse
	v_fma_f32 v19, v33, v78, -v19
	;; [unrolled: 2-line block ×3, first 2 shown]
	global_load_dwordx2 v[88:89], v[16:17], off offset:3688
	global_load_dwordx2 v[78:79], v[4:5], off offset:32
	global_load_dwordx2 v[66:67], v[4:5], off offset:472
	global_load_dwordx2 v[24:25], v[0:1], off
	v_mad_u64_u32 v[0:1], s[14:15], s12, v8, v[0:1]
	v_accvgpr_write_b32 a167, v56           ;  Reload Reuse
	v_add_u32_e32 v56, 0x800, v36
	v_add_u32_e32 v1, s2, v1
	s_waitcnt vmcnt(15)
	v_mul_f32_e32 v26, v43, v45
	v_mul_f32_e32 v27, v42, v45
	v_fmac_f32_e32 v26, v42, v44
	v_accvgpr_write_b32 a237, v45           ;  Reload Reuse
	v_fma_f32 v27, v43, v44, -v27
	ds_write2_b64 v56, v[10:11], v[26:27] offset0:74 offset1:129
	global_load_dwordx2 v[26:27], v[0:1], off
	v_mad_u64_u32 v[0:1], s[14:15], s12, v8, v[0:1]
	s_waitcnt vmcnt(15)
	v_mul_f32_e32 v10, v15, v61
	v_mul_f32_e32 v11, v14, v61
	v_add_u32_e32 v1, s2, v1
	v_mul_f32_e32 v12, v31, v87
	v_mul_f32_e32 v13, v30, v87
	v_fmac_f32_e32 v10, v14, v60
	v_fma_f32 v11, v15, v60, -v11
	global_load_dwordx2 v[14:15], v[0:1], off
	v_mad_u64_u32 v[0:1], s[14:15], s12, v9, v[0:1]
	v_fmac_f32_e32 v12, v30, v86
	v_accvgpr_write_b32 a173, v87           ;  Reload Reuse
	v_fma_f32 v13, v31, v86, -v13
	v_add_u32_e32 v1, s3, v1
	ds_write2_b64 v37, v[12:13], v[10:11] offset0:93 offset1:148
	global_load_dwordx2 v[10:11], v[0:1], off
	v_mad_u64_u32 v[0:1], s[14:15], s12, v8, v[0:1]
	scratch_store_dwordx2 off, v[60:61], off offset:112 ; 8-byte Folded Spill
	v_add_u32_e32 v1, s2, v1
	v_accvgpr_write_b32 a191, v86           ;  Reload Reuse
	global_load_dwordx2 v[12:13], v[0:1], off
	global_load_dwordx2 v[86:87], v36, s[8:9] offset:3520
	v_mad_u64_u32 v[0:1], s[14:15], s12, v8, v[0:1]
	v_add_u32_e32 v1, s2, v1
	global_load_dwordx2 v[28:29], v[0:1], off
	v_mad_u64_u32 v[0:1], s[14:15], s12, v8, v[0:1]
	v_add_u32_e32 v1, s2, v1
	global_load_dwordx2 v[30:31], v[0:1], off
	v_mad_u64_u32 v[0:1], s[14:15], s12, v8, v[0:1]
	v_add_u32_e32 v1, s2, v1
	v_mul_f32_e32 v16, v3, v81
	global_load_dwordx2 v[32:33], v[0:1], off
	v_mad_u64_u32 v[0:1], s[14:15], s12, v8, v[0:1]
	v_fmac_f32_e32 v16, v2, v80
	v_mul_f32_e32 v2, v2, v81
	v_add_u32_e32 v1, s2, v1
	v_accvgpr_write_b32 a211, v81           ;  Reload Reuse
	v_fma_f32 v17, v3, v80, -v2
	v_mul_f32_e32 v2, v7, v73
	v_mul_f32_e32 v3, v6, v73
	global_load_dwordx2 v[34:35], v[0:1], off
	v_mad_u64_u32 v[0:1], s[14:15], s12, v8, v[0:1]
	v_fmac_f32_e32 v2, v6, v72
	v_accvgpr_write_b32 a219, v73           ;  Reload Reuse
	v_fma_f32 v3, v7, v72, -v3
	v_mul_f32_e32 v6, v39, v47
	v_mul_f32_e32 v7, v38, v47
	v_add_u32_e32 v1, s2, v1
	v_fmac_f32_e32 v6, v38, v46
	v_accvgpr_write_b32 a223, v47           ;  Reload Reuse
	v_fma_f32 v7, v39, v46, -v7
	global_load_dwordx2 v[38:39], v[0:1], off
	v_mad_u64_u32 v[0:1], s[14:15], s12, v9, v[0:1]
	v_add_u32_e32 v1, s3, v1
	global_load_dwordx2 v[40:41], v[0:1], off
	v_mad_u64_u32 v[0:1], s[14:15], s12, v8, v[0:1]
	v_add_u32_e32 v1, s2, v1
	v_accvgpr_write_b32 a215, v80           ;  Reload Reuse
	global_load_dwordx2 v[42:43], v[0:1], off
	global_load_dwordx2 v[80:81], v36, s[8:9] offset:3960
	v_mad_u64_u32 v[0:1], s[14:15], s12, v8, v[0:1]
	v_add_u32_e32 v1, s2, v1
	v_accvgpr_write_b32 a229, v46           ;  Reload Reuse
	global_load_dwordx2 v[46:47], v[0:1], off
	v_mad_u64_u32 v[0:1], s[14:15], s12, v8, v[0:1]
	v_add_u32_e32 v1, s2, v1
	v_accvgpr_write_b32 a171, v48           ;  Reload Reuse
	global_load_dwordx2 v[48:49], v[0:1], off
	v_mad_u64_u32 v[0:1], s[14:15], s12, v8, v[0:1]
	v_accvgpr_write_b32 a253, v44           ;  Reload Reuse
	s_waitcnt vmcnt(20)
	v_mul_f32_e32 v44, v23, v59
	v_mul_f32_e32 v9, v22, v59
	v_add_u32_e32 v1, s2, v1
	v_fmac_f32_e32 v44, v22, v58
	v_fma_f32 v45, v23, v58, -v9
	global_load_dwordx2 v[22:23], v[0:1], off
	v_mad_u64_u32 v[0:1], s[14:15], s12, v8, v[0:1]
	scratch_store_dwordx2 off, v[58:59], off offset:136 ; 8-byte Folded Spill
	v_add_u32_e32 v58, 0x1800, v36
	v_add_u32_e32 v1, s2, v1
	ds_write2_b64 v58, v[18:19], v[44:45] offset0:112 offset1:167
	global_load_dwordx2 v[44:45], v[0:1], off
	v_mad_u64_u32 v[0:1], s[12:13], s12, v8, v[0:1]
	v_add_u32_e32 v1, s2, v1
	v_accvgpr_write_b32 a221, v72           ;  Reload Reuse
	global_load_dwordx2 v[8:9], v[0:1], off
	global_load_dwordx2 v[72:73], v[4:5], off offset:2672
	s_waitcnt vmcnt(21)
	v_mul_f32_e32 v0, v24, v85
	v_fma_f32 v19, v25, v84, -v0
	s_waitcnt vmcnt(20)
	v_mul_f32_e32 v0, v27, v89
	v_mul_f32_e32 v1, v26, v89
	v_fmac_f32_e32 v0, v26, v88
	v_fma_f32 v1, v27, v88, -v1
	v_add_u32_e32 v59, 0x2800, v36
	ds_write2_b64 v59, v[16:17], v[0:1] offset0:150 offset1:205
	s_waitcnt vmcnt(19)
	v_mul_f32_e32 v0, v15, v83
	v_mul_f32_e32 v1, v14, v83
	v_fmac_f32_e32 v0, v14, v82
	v_fma_f32 v1, v15, v82, -v1
	v_add_u32_e32 v57, 0x3000, v36
	ds_write2_b64 v57, v[2:3], v[0:1] offset0:169 offset1:224
	s_waitcnt vmcnt(18)
	v_mul_f32_e32 v0, v11, v53
	v_mul_f32_e32 v1, v10, v53
	v_fmac_f32_e32 v0, v10, v52
	v_fma_f32 v1, v11, v52, -v1
	ds_write2_b64 v36, v[6:7], v[0:1] offset0:110 offset1:165
	s_waitcnt vmcnt(15)
	v_mul_f32_e32 v0, v13, v87
	v_mul_f32_e32 v1, v12, v87
	v_fmac_f32_e32 v0, v12, v86
	v_fma_f32 v1, v13, v86, -v1
	s_waitcnt vmcnt(14)
	v_mul_f32_e32 v2, v29, v69
	v_mul_f32_e32 v3, v28, v69
	v_fmac_f32_e32 v2, v28, v68
	v_fma_f32 v3, v29, v68, -v3
	;; [unrolled: 5-line block ×4, first 2 shown]
	v_add_u32_e32 v60, 0x2400, v36
	s_waitcnt vmcnt(11)
	v_mul_f32_e32 v10, v35, v79
	v_mul_f32_e32 v11, v34, v79
	v_fmac_f32_e32 v10, v34, v78
	v_fma_f32 v11, v35, v78, -v11
	v_mul_f32_e32 v18, v25, v85
	s_waitcnt vmcnt(10)
	v_mul_f32_e32 v12, v39, v71
	v_mul_f32_e32 v13, v38, v71
	s_waitcnt vmcnt(9)
	v_mul_f32_e32 v14, v41, v51
	v_mul_f32_e32 v15, v40, v51
	v_fmac_f32_e32 v14, v40, v50
	v_fma_f32 v15, v41, v50, -v15
	ds_write_b64 v36, v[14:15] offset:1760
	s_waitcnt vmcnt(7)
	v_mul_f32_e32 v14, v43, v81
	v_mul_f32_e32 v15, v42, v81
	v_fmac_f32_e32 v14, v42, v80
	v_fma_f32 v15, v43, v80, -v15
	ds_write2_b64 v56, v[0:1], v[14:15] offset0:184 offset1:239
	s_waitcnt vmcnt(6)
	v_mul_f32_e32 v0, v47, v55
	v_mul_f32_e32 v1, v46, v55
	v_fmac_f32_e32 v0, v46, v54
	v_fma_f32 v1, v47, v54, -v1
	v_add_u32_e32 v14, 0x1400, v36
	ds_write2_b64 v14, v[2:3], v[0:1] offset0:75 offset1:130
	s_waitcnt vmcnt(5)
	v_mul_f32_e32 v0, v49, v63
	v_mul_f32_e32 v1, v48, v63
	v_fmac_f32_e32 v0, v48, v62
	v_fma_f32 v1, v49, v62, -v1
	v_add_u32_e32 v2, 0x1c00, v36
	ds_write2_b64 v2, v[4:5], v[0:1] offset0:94 offset1:149
	v_fmac_f32_e32 v18, v24, v84
	v_add_u32_e32 v61, 0x2000, v36
	s_waitcnt vmcnt(4)
	v_mul_f32_e32 v0, v23, v65
	v_mul_f32_e32 v1, v22, v65
	v_fmac_f32_e32 v0, v22, v64
	v_fma_f32 v1, v23, v64, -v1
	ds_write2_b64 v60, v[6:7], v[0:1] offset0:113 offset1:168
	v_fmac_f32_e32 v12, v38, v70
	v_fma_f32 v13, v39, v70, -v13
	s_waitcnt vmcnt(2)
	v_mul_f32_e32 v0, v45, v67
	v_mul_f32_e32 v1, v44, v67
	v_fmac_f32_e32 v0, v44, v66
	v_fma_f32 v1, v45, v66, -v1
	ds_write2_b64 v57, v[10:11], v[0:1] offset0:4 offset1:59
	s_waitcnt vmcnt(0)
	v_mul_f32_e32 v0, v9, v73
	v_mul_f32_e32 v1, v8, v73
	scratch_store_dwordx2 off, v[62:63], off offset:24 ; 8-byte Folded Spill
	v_fmac_f32_e32 v0, v8, v72
	v_fma_f32 v1, v9, v72, -v1
	v_add_u32_e32 v3, 0x3800, v36
	v_add_u32_e32 v62, 0x400, v36
	scratch_store_dwordx2 off, v[84:85], off offset:144 ; 8-byte Folded Spill
	ds_write2_b64 v61, v[20:21], v[18:19] offset0:131 offset1:186
	scratch_store_dwordx2 off, v[88:89], off offset:128 ; 8-byte Folded Spill
	scratch_store_dwordx2 off, v[82:83], off offset:120 ; 8-byte Folded Spill
	;; [unrolled: 1-line block ×14, first 2 shown]
	scratch_store_dwordx2 off, v[72:73], off ; 8-byte Folded Spill
	ds_write2_b64 v3, v[12:13], v[0:1] offset0:23 offset1:78
	s_waitcnt lgkmcnt(0)
	; wave barrier
	s_waitcnt lgkmcnt(0)
	ds_read2_b64 v[12:15], v62 offset0:92 offset1:147
	ds_read2_b64 v[26:29], v58 offset0:2 offset1:57
	;; [unrolled: 1-line block ×6, first 2 shown]
	ds_read_b64 v[16:17], v36 offset:14960
	s_waitcnt lgkmcnt(4)
	v_pk_add_f32 v[44:45], v[26:27], v[6:7] neg_lo:[0,1] neg_hi:[0,1]
	v_pk_add_f32 v[42:43], v[26:27], v[6:7]
	s_waitcnt lgkmcnt(2)
	v_pk_add_f32 v[46:47], v[2:3], v[30:31]
	v_pk_add_f32 v[48:49], v[30:31], v[2:3] neg_lo:[0,1] neg_hi:[0,1]
	s_waitcnt lgkmcnt(0)
	v_pk_add_f32 v[50:51], v[10:11], v[16:17]
	v_pk_add_f32 v[10:11], v[10:11], v[16:17] neg_lo:[0,1] neg_hi:[0,1]
	v_pk_add_f32 v[16:17], v[50:51], v[46:47] neg_lo:[0,1] neg_hi:[0,1]
	;; [unrolled: 1-line block ×3, first 2 shown]
	v_pk_add_f32 v[38:39], v[44:45], v[10:11] op_sel:[1,1] op_sel_hi:[0,0] neg_lo:[0,1] neg_hi:[0,1]
	s_mov_b32 s14, 0x3f5ff5aa
	v_pk_mul_f32 v[6:7], v[6:7], s[16:17] op_sel_hi:[1,0]
	v_pk_add_f32 v[18:19], v[10:11], v[48:49] op_sel:[1,1] op_sel_hi:[0,0] neg_lo:[0,1] neg_hi:[0,1]
	v_pk_mul_f32 v[52:53], v[16:17], s[22:23] op_sel_hi:[1,0]
	v_pk_mul_f32 v[16:17], v[38:39], s[14:15] op_sel_hi:[1,0]
	v_pk_fma_f32 v[40:41], v[18:19], s[24:25], v[6:7] op_sel:[0,0,1] op_sel_hi:[1,0,0]
	v_pk_fma_f32 v[54:55], v[18:19], s[24:25], v[16:17] op_sel_hi:[1,0,1] neg_lo:[1,0,1] neg_hi:[1,0,1]
	ds_read2_b64 v[24:27], v57 offset0:114 offset1:169
	ds_read2_b64 v[16:19], v37 offset0:38 offset1:93
	;; [unrolled: 1-line block ×3, first 2 shown]
	s_mov_b32 s17, s24
	s_mov_b32 s12, 0x3ee1c552
	s_waitcnt lgkmcnt(2)
	v_pk_add_f32 v[84:85], v[14:15], v[24:25]
	s_waitcnt lgkmcnt(1)
	v_pk_add_f32 v[86:87], v[16:17], v[32:33]
	;; [unrolled: 2-line block ×3, first 2 shown]
	v_pk_add_f32 v[64:65], v[86:87], v[84:85]
	v_pk_add_f32 v[24:25], v[14:15], v[24:25] neg_lo:[0,1] neg_hi:[0,1]
	v_pk_add_f32 v[88:89], v[16:17], v[32:33] neg_lo:[0,1] neg_hi:[0,1]
	;; [unrolled: 1-line block ×3, first 2 shown]
	v_mov_b32_e32 v16, v34
	v_mov_b32_e32 v17, v85
	;; [unrolled: 1-line block ×4, first 2 shown]
	v_pk_add_f32 v[68:69], v[34:35], v[64:65]
	v_pk_add_f32 v[16:17], v[16:17], v[20:21] neg_lo:[0,1] neg_hi:[0,1]
	v_mov_b32_e32 v20, v84
	v_mov_b32_e32 v35, v87
	;; [unrolled: 1-line block ×6, first 2 shown]
	ds_read2_b64 v[64:67], v36 offset1:55
	v_pk_add_f32 v[90:91], v[20:21], v[34:35] neg_lo:[0,1] neg_hi:[0,1]
	v_pk_add_f32 v[20:21], v[14:15], v[88:89]
	v_pk_add_f32 v[28:29], v[28:29], v[32:33] neg_lo:[0,1] neg_hi:[0,1]
	v_mov_b32_e32 v32, v25
	v_mov_b32_e32 v14, v15
	;; [unrolled: 1-line block ×3, first 2 shown]
	s_mov_b32 s25, s16
	v_pk_add_f32 v[92:93], v[32:33], v[14:15] neg_lo:[0,1] neg_hi:[0,1]
	v_pk_add_f32 v[94:95], v[20:21], v[24:25]
	v_pk_mul_f32 v[96:97], v[28:29], s[16:17]
	v_pk_add_f32 v[30:31], v[46:47], v[42:43] neg_lo:[0,1] neg_hi:[0,1]
	v_pk_mul_f32 v[14:15], v[94:95], s[12:13] op_sel_hi:[1,0]
	v_pk_fma_f32 v[20:21], v[92:93], s[24:25], v[96:97]
	v_pk_mul_f32 v[2:3], v[30:31], s[18:19] op_sel_hi:[1,0]
	v_pk_add_f32 v[14:15], v[14:15], v[20:21] op_sel:[1,0] op_sel_hi:[0,1]
	v_pk_fma_f32 v[20:21], v[30:31], s[18:19], v[52:53] op_sel_hi:[1,0,1]
	s_mov_b32 s19, s22
	s_mov_b32 s23, s18
	v_pk_mul_f32 v[98:99], v[16:17], s[18:19]
	s_waitcnt lgkmcnt(0)
	v_pk_add_f32 v[64:65], v[64:65], v[68:69]
	v_pk_fma_f32 v[16:17], v[90:91], s[22:23], v[98:99]
	v_pk_fma_f32 v[100:101], v[68:69], s[20:21], v[64:65] op_sel_hi:[1,0,1] neg_lo:[1,0,0] neg_hi:[1,0,0]
	v_add_u32_e32 v63, 0x3400, v36
	v_pk_add_f32 v[16:17], v[16:17], v[100:101]
	v_pk_add_f32 v[24:25], v[88:89], v[24:25] neg_lo:[0,1] neg_hi:[0,1]
	v_pk_add_f32 v[102:103], v[16:17], v[14:15]
	v_pk_add_f32 v[104:105], v[16:17], v[14:15] neg_lo:[0,1] neg_hi:[0,1]
	v_accvgpr_read_b32 v15, a59             ;  Reload Reuse
	v_accvgpr_read_b32 v14, a61             ;  Reload Reuse
	v_mul_lo_u16_e32 v14, 7, v14
	v_lshlrev_b32_e32 v108, 3, v14
	v_mov_b32_e32 v106, v102
	v_mov_b32_e32 v107, v105
	ds_read2_b64 v[68:71], v56 offset0:74 offset1:129
	ds_read2_b64 v[72:75], v58 offset0:112 offset1:167
	;; [unrolled: 1-line block ×7, first 2 shown]
	s_waitcnt lgkmcnt(0)
	; wave barrier
	s_waitcnt lgkmcnt(0)
	ds_write2_b64 v108, v[64:65], v[106:107] offset1:1
	v_pk_add_f32 v[64:65], v[86:87], v[84:85] neg_lo:[0,1] neg_hi:[0,1]
	v_pk_mul_f32 v[84:85], v[90:91], s[22:23]
	v_pk_mul_f32 v[86:87], v[92:93], s[24:25]
	v_mov_b32_e32 v88, v84
	v_mov_b32_e32 v89, v99
	;; [unrolled: 1-line block ×7, first 2 shown]
	v_pk_fma_f32 v[88:89], v[64:65], s[26:27], v[88:89] op_sel_hi:[1,0,1] neg_lo:[1,0,1] neg_hi:[1,0,1]
	v_pk_fma_f32 v[90:91], v[24:25], s[14:15], v[90:91] op_sel_hi:[1,0,1] neg_lo:[1,0,1] neg_hi:[1,0,1]
	;; [unrolled: 1-line block ×4, first 2 shown]
	v_pk_add_f32 v[88:89], v[88:89], v[100:101]
	v_pk_fma_f32 v[90:91], v[94:95], s[12:13], v[90:91] op_sel_hi:[1,0,1]
	v_pk_add_f32 v[64:65], v[64:65], v[100:101]
	v_pk_fma_f32 v[24:25], v[94:95], s[12:13], v[24:25] op_sel_hi:[1,0,1]
	v_pk_add_f32 v[92:93], v[88:89], v[90:91] op_sel:[0,1] op_sel_hi:[1,0]
	v_pk_add_f32 v[88:89], v[88:89], v[90:91] op_sel:[0,1] op_sel_hi:[1,0] neg_lo:[0,1] neg_hi:[0,1]
	v_pk_add_f32 v[84:85], v[64:65], v[24:25] op_sel:[0,1] op_sel_hi:[1,0] neg_lo:[0,1] neg_hi:[0,1]
	v_pk_add_f32 v[24:25], v[64:65], v[24:25] op_sel:[0,1] op_sel_hi:[1,0]
	v_mov_b32_e32 v64, v92
	v_mov_b32_e32 v65, v89
	;; [unrolled: 1-line block ×6, first 2 shown]
	ds_write2_b64 v108, v[64:65], v[86:87] offset0:2 offset1:3
	ds_write2_b64 v108, v[24:25], v[88:89] offset0:4 offset1:5
	v_pk_add_f32 v[24:25], v[68:69], v[26:27]
	v_pk_add_f32 v[64:65], v[18:19], v[76:77]
	;; [unrolled: 1-line block ×4, first 2 shown]
	v_pk_add_f32 v[26:27], v[68:69], v[26:27] neg_lo:[0,1] neg_hi:[0,1]
	v_pk_add_f32 v[22:23], v[22:23], v[72:73] neg_lo:[0,1] neg_hi:[0,1]
	v_mov_b32_e32 v68, v84
	v_mov_b32_e32 v69, v25
	;; [unrolled: 1-line block ×4, first 2 shown]
	v_pk_add_f32 v[86:87], v[84:85], v[86:87]
	v_pk_add_f32 v[18:19], v[18:19], v[76:77] neg_lo:[0,1] neg_hi:[0,1]
	v_pk_add_f32 v[68:69], v[68:69], v[72:73] neg_lo:[0,1] neg_hi:[0,1]
	v_mov_b32_e32 v72, v24
	v_mov_b32_e32 v85, v65
	v_pk_add_f32 v[72:73], v[72:73], v[84:85] neg_lo:[0,1] neg_hi:[0,1]
	v_mov_b32_e32 v76, v23
	v_mov_b32_e32 v77, v26
	;; [unrolled: 1-line block ×4, first 2 shown]
	v_pk_add_f32 v[76:77], v[76:77], v[84:85] neg_lo:[0,1] neg_hi:[0,1]
	v_mov_b32_e32 v84, v27
	v_mov_b32_e32 v88, v23
	;; [unrolled: 1-line block ×3, first 2 shown]
	v_pk_add_f32 v[22:23], v[22:23], v[18:19]
	v_pk_add_f32 v[84:85], v[84:85], v[88:89] neg_lo:[0,1] neg_hi:[0,1]
	v_pk_add_f32 v[22:23], v[22:23], v[26:27]
	v_pk_mul_f32 v[76:77], v[76:77], s[16:17]
	v_pk_add_f32 v[66:67], v[66:67], v[86:87]
	v_pk_mul_f32 v[88:89], v[22:23], s[12:13] op_sel_hi:[1,0]
	v_pk_fma_f32 v[90:91], v[84:85], s[24:25], v[76:77]
	v_pk_mul_f32 v[68:69], v[68:69], s[18:19]
	v_pk_add_f32 v[88:89], v[88:89], v[90:91] op_sel:[1,0] op_sel_hi:[0,1]
	v_pk_fma_f32 v[86:87], v[86:87], s[20:21], v[66:67] op_sel_hi:[1,0,1] neg_lo:[1,0,0] neg_hi:[1,0,0]
	v_pk_fma_f32 v[90:91], v[72:73], s[22:23], v[68:69]
	v_mov_b32_e32 v105, v103
	v_pk_add_f32 v[90:91], v[90:91], v[86:87]
	v_pk_add_f32 v[24:25], v[64:65], v[24:25] neg_lo:[0,1] neg_hi:[0,1]
	v_pk_add_f32 v[92:93], v[90:91], v[88:89]
	v_pk_add_f32 v[88:89], v[90:91], v[88:89] neg_lo:[0,1] neg_hi:[0,1]
	v_accvgpr_read_b32 v91, a59             ;  Reload Reuse
	v_accvgpr_read_b32 v90, a61             ;  Reload Reuse
	v_lshl_add_u64 v[112:113], v[90:91], 0, 55
	v_mul_u32_u24_e32 v90, 7, v112
	v_lshlrev_b32_e32 v94, 3, v90
	v_mov_b32_e32 v90, v92
	v_mov_b32_e32 v91, v89
	v_pk_add_f32 v[18:19], v[18:19], v[26:27] neg_lo:[0,1] neg_hi:[0,1]
	v_pk_mul_f32 v[26:27], v[72:73], s[22:23]
	v_pk_mul_f32 v[64:65], v[84:85], s[24:25]
	ds_write_b64 v108, v[104:105] offset:48
	ds_write2_b64 v94, v[66:67], v[90:91] offset1:1
	v_mov_b32_e32 v66, v26
	v_mov_b32_e32 v67, v69
	;; [unrolled: 1-line block ×7, first 2 shown]
	v_pk_fma_f32 v[66:67], v[24:25], s[26:27], v[66:67] op_sel_hi:[1,0,1] neg_lo:[1,0,1] neg_hi:[1,0,1]
	v_pk_fma_f32 v[72:73], v[18:19], s[14:15], v[72:73] op_sel_hi:[1,0,1] neg_lo:[1,0,1] neg_hi:[1,0,1]
	;; [unrolled: 1-line block ×4, first 2 shown]
	v_pk_add_f32 v[66:67], v[66:67], v[86:87]
	v_pk_fma_f32 v[72:73], v[22:23], s[12:13], v[72:73] op_sel_hi:[1,0,1]
	v_pk_add_f32 v[24:25], v[24:25], v[86:87]
	v_pk_fma_f32 v[18:19], v[22:23], s[12:13], v[18:19] op_sel_hi:[1,0,1]
	v_pk_add_f32 v[84:85], v[66:67], v[72:73] op_sel:[0,1] op_sel_hi:[1,0]
	v_pk_add_f32 v[66:67], v[66:67], v[72:73] op_sel:[0,1] op_sel_hi:[1,0] neg_lo:[0,1] neg_hi:[0,1]
	v_pk_add_f32 v[22:23], v[24:25], v[18:19] op_sel:[0,1] op_sel_hi:[1,0] neg_lo:[0,1] neg_hi:[0,1]
	v_pk_add_f32 v[18:19], v[24:25], v[18:19] op_sel:[0,1] op_sel_hi:[1,0]
	v_mov_b32_e32 v24, v84
	v_mov_b32_e32 v25, v67
	;; [unrolled: 1-line block ×4, first 2 shown]
	ds_write2_b64 v94, v[24:25], v[26:27] offset0:2 offset1:3
	v_pk_add_f32 v[24:25], v[42:43], v[50:51]
	v_pk_add_f32 v[26:27], v[42:43], v[50:51] neg_lo:[0,1] neg_hi:[0,1]
	v_pk_add_f32 v[24:25], v[46:47], v[24:25]
	v_pk_add_f32 v[42:43], v[48:49], v[44:45] op_sel:[1,1] op_sel_hi:[0,0]
	v_pk_add_f32 v[44:45], v[12:13], v[24:25]
	v_pk_add_f32 v[42:43], v[42:43], v[10:11] op_sel:[0,1] op_sel_hi:[1,0]
	v_pk_fma_f32 v[24:25], v[24:25], s[20:21], v[44:45] op_sel_hi:[1,0,1] neg_lo:[1,0,0] neg_hi:[1,0,0]
	v_pk_fma_f32 v[10:11], v[26:27], s[26:27], v[52:53] op_sel_hi:[1,0,1] neg_lo:[1,0,1] neg_hi:[1,0,1]
	v_pk_fma_f32 v[46:47], v[42:43], s[12:13], v[54:55] op_sel_hi:[1,0,1]
	v_pk_add_f32 v[12:13], v[10:11], v[24:25]
	v_pk_add_f32 v[48:49], v[14:15], v[78:79]
	v_pk_add_f32 v[10:11], v[12:13], v[46:47] neg_lo:[0,1] neg_hi:[0,1]
	v_pk_add_f32 v[12:13], v[12:13], v[46:47]
	v_pk_add_f32 v[46:47], v[70:71], v[32:33]
	;; [unrolled: 1-line block ×3, first 2 shown]
	v_mov_b32_e32 v53, v47
	v_mov_b32_e32 v52, v50
	;; [unrolled: 1-line block ×4, first 2 shown]
	v_pk_add_f32 v[32:33], v[70:71], v[32:33] neg_lo:[0,1] neg_hi:[0,1]
	v_pk_add_f32 v[14:15], v[14:15], v[78:79] neg_lo:[0,1] neg_hi:[0,1]
	;; [unrolled: 1-line block ×4, first 2 shown]
	v_pk_add_f32 v[54:55], v[48:49], v[46:47]
	v_mov_b32_e32 v19, v23
	v_mov_b32_e32 v67, v85
	v_pk_add_f32 v[54:55], v[50:51], v[54:55]
	v_mov_b32_e32 v64, v46
	v_mov_b32_e32 v65, v51
	;; [unrolled: 1-line block ×3, first 2 shown]
	ds_write2_b64 v94, v[18:19], v[66:67] offset0:4 offset1:5
	v_mov_b32_e32 v18, v29
	v_mov_b32_e32 v19, v32
	;; [unrolled: 1-line block ×4, first 2 shown]
	v_pk_add_f32 v[50:51], v[64:65], v[50:51] neg_lo:[0,1] neg_hi:[0,1]
	v_pk_add_f32 v[18:19], v[18:19], v[22:23] neg_lo:[0,1] neg_hi:[0,1]
	v_mov_b32_e32 v22, v33
	v_mov_b32_e32 v64, v29
	;; [unrolled: 1-line block ×3, first 2 shown]
	v_pk_add_f32 v[28:29], v[28:29], v[14:15]
	v_pk_add_f32 v[22:23], v[22:23], v[64:65] neg_lo:[0,1] neg_hi:[0,1]
	v_pk_add_f32 v[28:29], v[28:29], v[32:33]
	v_pk_mul_f32 v[18:19], v[18:19], s[16:17]
	v_pk_mul_f32 v[64:65], v[28:29], s[12:13] op_sel_hi:[1,0]
	v_pk_fma_f32 v[66:67], v[22:23], s[24:25], v[18:19]
	v_pk_mul_f32 v[52:53], v[52:53], s[18:19]
	v_pk_mul_f32 v[22:23], v[22:23], s[24:25]
	v_pk_add_f32 v[64:65], v[64:65], v[66:67] op_sel:[1,0] op_sel_hi:[0,1]
	v_pk_add_f32 v[66:67], v[80:81], v[54:55]
	v_pk_fma_f32 v[68:69], v[50:51], s[22:23], v[52:53]
	v_pk_add_f32 v[14:15], v[14:15], v[32:33] neg_lo:[0,1] neg_hi:[0,1]
	v_pk_mul_f32 v[32:33], v[50:51], s[22:23]
	v_mov_b32_e32 v50, v19
	v_mov_b32_e32 v51, v22
	;; [unrolled: 1-line block ×4, first 2 shown]
	v_accvgpr_read_b32 v19, a59             ;  Reload Reuse
	v_pk_fma_f32 v[54:55], v[54:55], s[20:21], v[66:67] op_sel_hi:[1,0,1] neg_lo:[1,0,0] neg_hi:[1,0,0]
	v_pk_add_f32 v[46:47], v[48:49], v[46:47] neg_lo:[0,1] neg_hi:[0,1]
	v_mov_b32_e32 v48, v32
	v_mov_b32_e32 v49, v53
	v_pk_fma_f32 v[50:51], v[14:15], s[14:15], v[50:51] op_sel_hi:[1,0,1] neg_lo:[1,0,1] neg_hi:[1,0,1]
	v_mov_b32_e32 v53, v33
	s_load_dwordx2 s[2:3], s[0:1], 0x38
	s_mov_b64 s[0:1], 0x6e
	v_pk_fma_f32 v[14:15], v[14:15], s[14:15], v[22:23] op_sel_hi:[1,0,1] neg_lo:[0,0,1] neg_hi:[0,0,1]
	v_accvgpr_read_b32 v18, a61             ;  Reload Reuse
	v_accvgpr_read_b32 v23, a59             ;  Reload Reuse
	v_pk_add_f32 v[68:69], v[68:69], v[54:55]
	v_pk_fma_f32 v[48:49], v[46:47], s[26:27], v[48:49] op_sel_hi:[1,0,1] neg_lo:[1,0,1] neg_hi:[1,0,1]
	v_pk_fma_f32 v[32:33], v[46:47], s[26:27], v[52:53] op_sel_hi:[1,0,1] neg_lo:[0,0,1] neg_hi:[0,0,1]
	v_lshl_add_u64 v[122:123], v[18:19], 0, s[0:1]
	s_mov_b64 s[0:1], 0xa5
	v_accvgpr_read_b32 v22, a61             ;  Reload Reuse
	v_pk_add_f32 v[70:71], v[68:69], v[64:65]
	v_pk_add_f32 v[64:65], v[68:69], v[64:65] neg_lo:[0,1] neg_hi:[0,1]
	v_pk_add_f32 v[48:49], v[48:49], v[54:55]
	v_pk_fma_f32 v[50:51], v[28:29], s[12:13], v[50:51] op_sel_hi:[1,0,1]
	v_pk_add_f32 v[18:19], v[32:33], v[54:55]
	v_lshl_add_u64 v[120:121], v[22:23], 0, s[0:1]
	v_mul_u32_u24_e32 v22, 7, v122
	v_pk_fma_f32 v[14:15], v[28:29], s[12:13], v[14:15] op_sel_hi:[1,0,1]
	v_pk_add_f32 v[68:69], v[48:49], v[50:51] op_sel:[0,1] op_sel_hi:[1,0]
	v_pk_add_f32 v[48:49], v[48:49], v[50:51] op_sel:[0,1] op_sel_hi:[1,0] neg_lo:[0,1] neg_hi:[0,1]
	v_lshlrev_b32_e32 v54, 3, v22
	v_pk_add_f32 v[22:23], v[18:19], v[14:15] op_sel:[0,1] op_sel_hi:[1,0] neg_lo:[0,1] neg_hi:[0,1]
	v_pk_add_f32 v[14:15], v[18:19], v[14:15] op_sel:[0,1] op_sel_hi:[1,0]
	v_mov_b32_e32 v89, v93
	v_mov_b32_e32 v32, v70
	;; [unrolled: 1-line block ×3, first 2 shown]
	ds_write_b64 v94, v[88:89] offset:48
	ds_write2_b64 v54, v[66:67], v[32:33] offset1:1
	v_mov_b32_e32 v32, v68
	v_mov_b32_e32 v33, v49
	;; [unrolled: 1-line block ×4, first 2 shown]
	v_pk_add_f32 v[18:19], v[8:9], v[34:35]
	v_pk_add_f32 v[28:29], v[16:17], v[4:5]
	ds_write2_b64 v54, v[32:33], v[46:47] offset0:2 offset1:3
	v_pk_add_f32 v[32:33], v[0:1], v[30:31]
	v_mov_b32_e32 v15, v23
	v_mov_b32_e32 v49, v69
	v_pk_add_f32 v[46:47], v[28:29], v[18:19]
	ds_write2_b64 v54, v[14:15], v[48:49] offset0:4 offset1:5
	v_pk_add_f32 v[4:5], v[16:17], v[4:5] neg_lo:[0,1] neg_hi:[0,1]
	v_mov_b32_e32 v14, v32
	v_mov_b32_e32 v15, v19
	;; [unrolled: 1-line block ×4, first 2 shown]
	v_pk_add_f32 v[46:47], v[32:33], v[46:47]
	v_pk_add_f32 v[8:9], v[8:9], v[34:35] neg_lo:[0,1] neg_hi:[0,1]
	v_pk_add_f32 v[0:1], v[30:31], v[0:1] neg_lo:[0,1] neg_hi:[0,1]
	v_pk_add_f32 v[14:15], v[14:15], v[16:17] neg_lo:[0,1] neg_hi:[0,1]
	v_mov_b32_e32 v16, v18
	v_mov_b32_e32 v33, v29
	v_pk_add_f32 v[16:17], v[16:17], v[32:33] neg_lo:[0,1] neg_hi:[0,1]
	v_mov_b32_e32 v32, v1
	v_mov_b32_e32 v33, v8
	;; [unrolled: 1-line block ×4, first 2 shown]
	v_accvgpr_read_b32 v53, a59             ;  Reload Reuse
	v_pk_add_f32 v[20:21], v[20:21], v[24:25]
	v_pk_fma_f32 v[40:41], v[42:43], s[12:13], v[40:41] op_sel_hi:[1,0,1]
	v_pk_add_f32 v[30:31], v[0:1], v[4:5]
	v_pk_add_f32 v[32:33], v[32:33], v[34:35] neg_lo:[0,1] neg_hi:[0,1]
	v_mov_b32_e32 v34, v9
	v_mov_b32_e32 v0, v1
	;; [unrolled: 1-line block ×3, first 2 shown]
	s_mov_b64 s[0:1], 0xdc
	v_pk_add_f32 v[50:51], v[82:83], v[46:47]
	v_accvgpr_read_b32 v52, a61             ;  Reload Reuse
	v_pk_add_f32 v[22:23], v[20:21], v[40:41]
	v_pk_add_f32 v[20:21], v[20:21], v[40:41] neg_lo:[0,1] neg_hi:[0,1]
	v_mul_u32_u24_e32 v40, 7, v120
	v_pk_add_f32 v[0:1], v[34:35], v[0:1] neg_lo:[0,1] neg_hi:[0,1]
	v_pk_add_f32 v[30:31], v[30:31], v[8:9]
	v_pk_mul_f32 v[14:15], v[14:15], s[18:19]
	v_pk_mul_f32 v[32:33], v[32:33], s[16:17]
	v_lshl_add_u64 v[66:67], v[52:53], 0, s[0:1]
	v_lshlrev_b32_e32 v52, 3, v40
	v_pk_mul_f32 v[34:35], v[16:17], s[22:23]
	v_pk_mul_f32 v[40:41], v[30:31], s[12:13] op_sel_hi:[1,0]
	v_pk_mul_f32 v[48:49], v[0:1], s[24:25]
	v_pk_fma_f32 v[46:47], v[46:47], s[20:21], v[50:51] op_sel_hi:[1,0,1] neg_lo:[1,0,0] neg_hi:[1,0,0]
	v_pk_fma_f32 v[16:17], v[16:17], s[22:23], v[14:15]
	v_pk_fma_f32 v[0:1], v[0:1], s[24:25], v[32:33]
	v_pk_add_f32 v[16:17], v[16:17], v[46:47]
	v_pk_add_f32 v[0:1], v[40:41], v[0:1] op_sel:[1,0] op_sel_hi:[0,1]
	v_pk_add_f32 v[40:41], v[16:17], v[0:1]
	v_pk_add_f32 v[0:1], v[16:17], v[0:1] neg_lo:[0,1] neg_hi:[0,1]
	v_mov_b32_e32 v65, v71
	v_mov_b32_e32 v16, v40
	;; [unrolled: 1-line block ×3, first 2 shown]
	ds_write_b64 v54, v[64:65] offset:48
	ds_write2_b64 v52, v[50:51], v[16:17] offset1:1
	v_pk_add_f32 v[16:17], v[28:29], v[18:19] neg_lo:[0,1] neg_hi:[0,1]
	v_pk_add_f32 v[4:5], v[4:5], v[8:9] neg_lo:[0,1] neg_hi:[0,1]
	v_mov_b32_e32 v8, v34
	v_mov_b32_e32 v9, v15
	v_mov_b32_e32 v15, v35
	v_pk_fma_f32 v[8:9], v[16:17], s[26:27], v[8:9] op_sel_hi:[1,0,1] neg_lo:[1,0,1] neg_hi:[1,0,1]
	v_mov_b32_e32 v18, v33
	v_mov_b32_e32 v19, v48
	v_pk_fma_f32 v[14:15], v[16:17], s[26:27], v[14:15] op_sel_hi:[1,0,1] neg_lo:[0,0,1] neg_hi:[0,0,1]
	v_mov_b32_e32 v16, v49
	v_mov_b32_e32 v17, v32
	v_pk_fma_f32 v[18:19], v[4:5], s[14:15], v[18:19] op_sel_hi:[1,0,1] neg_lo:[1,0,1] neg_hi:[1,0,1]
	v_pk_fma_f32 v[4:5], v[4:5], s[14:15], v[16:17] op_sel_hi:[1,0,1] neg_lo:[0,0,1] neg_hi:[0,0,1]
	v_pk_add_f32 v[8:9], v[8:9], v[46:47]
	v_pk_fma_f32 v[18:19], v[30:31], s[12:13], v[18:19] op_sel_hi:[1,0,1]
	v_pk_add_f32 v[14:15], v[14:15], v[46:47]
	v_pk_fma_f32 v[4:5], v[30:31], s[12:13], v[4:5] op_sel_hi:[1,0,1]
	v_pk_add_f32 v[28:29], v[8:9], v[18:19] op_sel:[0,1] op_sel_hi:[1,0]
	v_pk_add_f32 v[8:9], v[8:9], v[18:19] op_sel:[0,1] op_sel_hi:[1,0] neg_lo:[0,1] neg_hi:[0,1]
	v_pk_add_f32 v[16:17], v[14:15], v[4:5] op_sel:[0,1] op_sel_hi:[1,0] neg_lo:[0,1] neg_hi:[0,1]
	v_pk_add_f32 v[4:5], v[14:15], v[4:5] op_sel:[0,1] op_sel_hi:[1,0]
	v_mov_b32_e32 v1, v41
	v_mov_b32_e32 v15, v9
	;; [unrolled: 1-line block ×5, first 2 shown]
	ds_write_b64 v52, v[0:1] offset:48
	v_mul_u32_u24_e32 v0, 7, v66
	v_mov_b32_e32 v14, v28
	v_mov_b32_e32 v18, v16
	ds_write2_b64 v52, v[4:5], v[8:9] offset0:4 offset1:5
	v_lshlrev_b32_e32 v8, 3, v0
	v_mov_b32_e32 v0, v22
	v_mov_b32_e32 v1, v21
	ds_write2_b64 v52, v[14:15], v[18:19] offset0:2 offset1:3
	ds_write2_b64 v8, v[44:45], v[0:1] offset1:1
	v_pk_fma_f32 v[0:1], v[26:27], s[26:27], v[2:3] op_sel_hi:[1,0,1] neg_lo:[0,0,1] neg_hi:[0,0,1]
	v_pk_fma_f32 v[2:3], v[38:39], s[14:15], v[6:7] op_sel:[0,0,1] op_sel_hi:[1,0,0] neg_lo:[0,0,1] neg_hi:[0,0,1]
	v_pk_add_f32 v[0:1], v[0:1], v[24:25]
	v_pk_fma_f32 v[2:3], v[42:43], s[12:13], v[2:3] op_sel_hi:[1,0,1]
	v_mov_b32_e32 v21, v23
	v_pk_add_f32 v[4:5], v[0:1], v[2:3] neg_lo:[0,1] neg_hi:[0,1]
	v_pk_add_f32 v[0:1], v[0:1], v[2:3]
	v_mov_b32_e32 v3, v11
	v_mov_b32_e32 v7, v1
	;; [unrolled: 1-line block ×6, first 2 shown]
	ds_write2_b64 v8, v[0:1], v[10:11] offset0:4 offset1:5
	v_add_u32_e32 v0, 0xc00, v36
	v_accvgpr_write_b32 a14, v66
	ds_write2_b64 v8, v[2:3], v[6:7] offset0:2 offset1:3
	ds_write_b64 v8, v[20:21] offset:48
	s_waitcnt lgkmcnt(0)
	; wave barrier
	s_waitcnt lgkmcnt(0)
	ds_read2_b64 v[64:67], v36 offset0:110 offset1:175
	ds_read2_b64 v[148:151], v56 offset0:94 offset1:149
	;; [unrolled: 1-line block ×7, first 2 shown]
	v_add_u32_e32 v0, 0x2c00, v36
	v_accvgpr_write_b32 a115, v8
	ds_read2_b64 v[68:71], v0 offset0:102 offset1:167
	ds_read2_b64 v[136:139], v63 offset0:86 offset1:141
	;; [unrolled: 1-line block ×3, first 2 shown]
	ds_read_b64 v[8:9], v36 offset:14880
	ds_read2_b64 v[100:103], v59 offset1:55
	ds_read2_b64 v[132:135], v36 offset1:55
	ds_read2_b64 v[152:155], v37 offset0:188 offset1:243
	ds_read2_b64 v[0:3], v62 offset0:102 offset1:157
	;; [unrolled: 1-line block ×4, first 2 shown]
	v_accvgpr_read_b32 v47, a59             ;  Reload Reuse
	v_accvgpr_read_b32 v46, a61             ;  Reload Reuse
	v_accvgpr_write_b32 a113, v108
	v_accvgpr_write_b32 a119, v94
	;; [unrolled: 1-line block ×4, first 2 shown]
	v_cmp_gt_u16_e32 vcc, 10, v46
	v_mov_b32_e32 v56, v23
                                        ; implicit-def: $vgpr38
                                        ; implicit-def: $vgpr34
                                        ; implicit-def: $vgpr16
                                        ; implicit-def: $vgpr18
                                        ; implicit-def: $vgpr26
                                        ; implicit-def: $vgpr32
                                        ; implicit-def: $vgpr106
	s_and_saveexec_b64 s[0:1], vcc
	s_cbranch_execz .LBB0_3
; %bb.2:
	v_add_u32_e32 v4, 0x1a00, v36
	ds_read2_b64 v[18:21], v62 offset0:37 offset1:212
	ds_read2_b64 v[104:107], v37 offset0:3 offset1:178
	;; [unrolled: 1-line block ×5, first 2 shown]
	ds_read_b64 v[34:35], v36 offset:15320
	s_waitcnt lgkmcnt(3)
	v_mov_b32_e32 v116, v33
	v_mov_b32_e32 v10, v18
	;; [unrolled: 1-line block ×4, first 2 shown]
	s_waitcnt lgkmcnt(2)
	v_mov_b32_e32 v182, v27
	v_mov_b32_e32 v178, v29
	s_waitcnt lgkmcnt(1)
	v_mov_b32_e32 v168, v185
	v_mov_b32_e32 v38, v187
	;; [unrolled: 3-line block ×3, first 2 shown]
	v_mov_b32_e32 v16, v107
	v_mov_b32_e32 v18, v105
.LBB0_3:
	s_or_b64 exec, exec, s[0:1]
	v_mov_b32_e32 v4, 37
	v_mul_lo_u16_sdwa v5, v46, v4 dst_sel:DWORD dst_unused:UNUSED_PAD src0_sel:BYTE_0 src1_sel:DWORD
	v_sub_u16_sdwa v6, v46, v5 dst_sel:DWORD dst_unused:UNUSED_PAD src0_sel:DWORD src1_sel:BYTE_1
	v_lshrrev_b16_e32 v6, 1, v6
	v_and_b32_e32 v6, 0x7f, v6
	v_add_u16_sdwa v5, v6, v5 dst_sel:DWORD dst_unused:UNUSED_PAD src0_sel:DWORD src1_sel:BYTE_1
	v_mul_lo_u16_sdwa v6, v112, v4 dst_sel:DWORD dst_unused:UNUSED_PAD src0_sel:BYTE_0 src1_sel:DWORD
	v_sub_u16_sdwa v7, v112, v6 dst_sel:DWORD dst_unused:UNUSED_PAD src0_sel:DWORD src1_sel:BYTE_1
	v_lshrrev_b16_e32 v7, 1, v7
	v_and_b32_e32 v7, 0x7f, v7
	v_lshrrev_b16_e32 v210, 2, v5
	v_add_u16_sdwa v6, v7, v6 dst_sel:DWORD dst_unused:UNUSED_PAD src0_sel:DWORD src1_sel:BYTE_1
	v_mul_lo_u16_e32 v5, 7, v210
	v_lshrrev_b16_e32 v7, 2, v6
	v_sub_u16_e32 v5, v46, v5
	v_mul_lo_u16_e32 v6, 7, v7
	v_and_b32_e32 v211, 0xff, v5
	v_sub_u16_e32 v6, v112, v6
	v_mul_u32_u24_e32 v5, 10, v211
	v_and_b32_e32 v37, 0xff, v6
	v_lshlrev_b32_e32 v5, 3, v5
	v_accvgpr_write_b32 a26, v112
	v_mul_u32_u24_e32 v6, 10, v37
	global_load_dwordx4 v[160:163], v5, s[10:11] offset:48
	global_load_dwordx4 v[88:91], v5, s[10:11] offset:32
	;; [unrolled: 1-line block ×3, first 2 shown]
	global_load_dwordx4 v[156:159], v5, s[10:11]
	v_accvgpr_write_b32 a27, v113
	v_lshlrev_b32_e32 v212, 3, v6
	global_load_dwordx4 v[224:227], v5, s[10:11] offset:64
	global_load_dwordx4 v[112:115], v212, s[10:11]
	v_mul_lo_u16_sdwa v5, v122, v4 dst_sel:DWORD dst_unused:UNUSED_PAD src0_sel:BYTE_0 src1_sel:DWORD
	v_sub_u16_sdwa v6, v122, v5 dst_sel:DWORD dst_unused:UNUSED_PAD src0_sel:DWORD src1_sel:BYTE_1
	v_lshrrev_b16_e32 v6, 1, v6
	v_and_b32_e32 v6, 0x7f, v6
	v_add_u16_sdwa v5, v6, v5 dst_sel:DWORD dst_unused:UNUSED_PAD src0_sel:DWORD src1_sel:BYTE_1
	v_lshrrev_b16_e32 v6, 2, v5
	v_mul_lo_u16_e32 v5, 7, v6
	v_sub_u16_e32 v5, v122, v5
	v_accvgpr_write_b32 a0, v6
	v_and_b32_e32 v6, 0xff, v5
	v_mul_u32_u24_e32 v5, 10, v6
	v_mul_lo_u16_sdwa v4, v120, v4 dst_sel:DWORD dst_unused:UNUSED_PAD src0_sel:BYTE_0 src1_sel:DWORD
	v_lshlrev_b32_e32 v213, 3, v5
	v_sub_u16_sdwa v5, v120, v4 dst_sel:DWORD dst_unused:UNUSED_PAD src0_sel:DWORD src1_sel:BYTE_1
	v_lshrrev_b16_e32 v5, 1, v5
	v_and_b32_e32 v5, 0x7f, v5
	v_add_u16_sdwa v4, v5, v4 dst_sel:DWORD dst_unused:UNUSED_PAD src0_sel:DWORD src1_sel:BYTE_1
	v_accvgpr_write_b32 a2, v46
	v_lshrrev_b16_e32 v4, 2, v4
	v_accvgpr_write_b32 a3, v47
	global_load_dwordx4 v[44:47], v213, s[10:11]
	v_accvgpr_write_b32 a19, v4
	v_mul_lo_u16_e32 v4, 7, v4
	v_sub_u16_e32 v4, v120, v4
	v_and_b32_e32 v4, 0xff, v4
	v_accvgpr_write_b32 a55, v4
	v_mul_u32_u24_e32 v4, 10, v4
	v_lshlrev_b32_e32 v4, 3, v4
	global_load_dwordx4 v[40:43], v4, s[10:11]
	global_load_dwordx4 v[92:95], v4, s[10:11] offset:16
	global_load_dwordx4 v[48:51], v4, s[10:11] offset:32
	;; [unrolled: 1-line block ×6, first 2 shown]
	v_accvgpr_write_b32 a4, v7
	v_accvgpr_write_b32 a1, v6
	;; [unrolled: 1-line block ×4, first 2 shown]
	s_mov_b32 s20, 0xbf68dda4
	s_mov_b32 s12, 0xbf4178ce
	;; [unrolled: 1-line block ×22, first 2 shown]
	s_waitcnt vmcnt(13)
	v_mov_b32_e32 v220, v163
	s_waitcnt vmcnt(12)
	v_mov_b32_e32 v218, v91
	;; [unrolled: 2-line block ×3, first 2 shown]
	s_waitcnt vmcnt(10) lgkmcnt(14)
	v_pk_mul_f32 v[6:7], v[66:67], v[156:157] op_sel:[1,0] op_sel_hi:[0,1]
	v_mov_b32_e32 v4, v157
	v_pk_mul_f32 v[4:5], v[66:67], v[4:5] op_sel:[1,0] op_sel_hi:[0,1]
	s_waitcnt vmcnt(8) lgkmcnt(2)
	v_pk_mul_f32 v[52:53], v[0:1], v[112:113] op_sel:[1,0] op_sel_hi:[0,1]
	v_mov_b32_e32 v6, v113
	v_mov_b32_e32 v120, v53
	v_pk_fma_f32 v[174:175], v[0:1], v[112:113], v[120:121] op_sel:[1,0,0] op_sel_hi:[0,1,1]
	v_mov_b32_e32 v214, v159
	v_mov_b32_e32 v222, v227
	v_accvgpr_write_b32 a130, v214
	v_accvgpr_write_b32 a174, v224
	;; [unrolled: 1-line block ×15, first 2 shown]
	s_waitcnt vmcnt(7)
	v_mov_b32_e32 v52, v45
	v_pk_mul_f32 v[54:55], v[2:3], v[44:45] op_sel:[1,0] op_sel_hi:[0,1]
	s_waitcnt vmcnt(6)
	v_pk_mul_f32 v[56:57], v[56:57], v[40:41] op_sel_hi:[0,1]
	v_pk_mul_f32 v[18:19], v[18:19], v[42:43] op_sel_hi:[0,1]
	s_waitcnt vmcnt(5)
	v_pk_mul_f32 v[58:59], v[16:17], v[92:93] op_sel_hi:[0,1]
	v_pk_mul_f32 v[118:119], v[118:119], v[94:95] op_sel_hi:[0,1]
	v_accvgpr_write_b32 a84, v92
	v_pk_mul_f32 v[52:53], v[2:3], v[52:53] op_sel:[1,0] op_sel_hi:[0,1]
	v_mov_b32_e32 v122, v55
	v_pk_fma_f32 v[180:181], v[20:21], v[40:41], v[56:57] op_sel:[0,0,1] op_sel_hi:[1,1,0] neg_lo:[0,0,1] neg_hi:[0,0,1]
	v_pk_fma_f32 v[20:21], v[20:21], v[40:41], v[56:57] op_sel:[0,0,1] op_sel_hi:[0,1,0]
	v_pk_fma_f32 v[164:165], v[104:105], v[42:43], v[18:19] op_sel:[0,0,1] op_sel_hi:[1,1,0] neg_lo:[0,0,1] neg_hi:[0,0,1]
	v_pk_fma_f32 v[56:57], v[104:105], v[42:43], v[18:19] op_sel:[0,0,1] op_sel_hi:[0,1,0]
	;; [unrolled: 2-line block ×3, first 2 shown]
	v_pk_fma_f32 v[18:19], v[30:31], v[94:95], v[118:119] op_sel:[0,0,1] op_sel_hi:[1,1,0] neg_lo:[0,0,1] neg_hi:[0,0,1]
	v_accvgpr_write_b32 a85, v93
	v_accvgpr_write_b32 a86, v94
	;; [unrolled: 1-line block ×3, first 2 shown]
	v_pk_fma_f32 v[30:31], v[30:31], v[94:95], v[118:119] op_sel:[0,0,1] op_sel_hi:[0,1,0]
	v_mov_b32_e32 v92, v156
	v_mov_b32_e32 v54, v7
	v_pk_mul_f32 v[6:7], v[0:1], v[6:7] op_sel:[1,0] op_sel_hi:[0,1]
	v_mov_b32_e32 v93, v157
	v_pk_fma_f32 v[172:173], v[2:3], v[44:45], v[52:53] neg_lo:[0,0,1] neg_hi:[0,0,1]
	v_pk_fma_f32 v[170:171], v[2:3], v[44:45], v[122:123] op_sel:[1,0,0] op_sel_hi:[0,1,1]
	s_waitcnt vmcnt(4)
	v_pk_mul_f32 v[2:3], v[116:117], v[48:49] op_sel_hi:[0,1]
	v_pk_fma_f32 v[106:107], v[66:67], v[92:93], v[4:5] neg_lo:[0,0,1] neg_hi:[0,0,1]
	v_pk_fma_f32 v[176:177], v[0:1], v[112:113], v[6:7] neg_lo:[0,0,1] neg_hi:[0,0,1]
	v_pk_fma_f32 v[0:1], v[32:33], v[48:49], v[2:3] op_sel:[0,0,1] op_sel_hi:[1,1,0] neg_lo:[0,0,1] neg_hi:[0,0,1]
	v_pk_fma_f32 v[2:3], v[32:33], v[48:49], v[2:3] op_sel:[0,0,1] op_sel_hi:[0,1,0]
	v_pk_mul_f32 v[4:5], v[182:183], v[50:51] op_sel_hi:[0,1]
	v_mov_b32_e32 v1, v3
	v_pk_fma_f32 v[2:3], v[26:27], v[50:51], v[4:5] op_sel:[0,0,1] op_sel_hi:[1,1,0] neg_lo:[0,0,1] neg_hi:[0,0,1]
	v_pk_fma_f32 v[4:5], v[26:27], v[50:51], v[4:5] op_sel:[0,0,1] op_sel_hi:[0,1,0]
	v_mov_b32_e32 v3, v5
	s_waitcnt vmcnt(3)
	v_pk_mul_f32 v[4:5], v[178:179], v[60:61] op_sel_hi:[0,1]
	v_mov_b32_e32 v181, v21
	v_pk_fma_f32 v[20:21], v[28:29], v[60:61], v[4:5] op_sel:[0,0,1] op_sel_hi:[1,1,0] neg_lo:[0,0,1] neg_hi:[0,0,1]
	v_pk_fma_f32 v[4:5], v[28:29], v[60:61], v[4:5] op_sel:[0,0,1] op_sel_hi:[0,1,0]
	v_mov_b32_e32 v21, v5
	v_pk_mul_f32 v[4:5], v[168:169], v[62:63] op_sel_hi:[0,1]
	v_pk_fma_f32 v[26:27], v[184:185], v[62:63], v[4:5] op_sel:[0,0,1] op_sel_hi:[1,1,0] neg_lo:[0,0,1] neg_hi:[0,0,1]
	v_pk_fma_f32 v[4:5], v[184:185], v[62:63], v[4:5] op_sel:[0,0,1] op_sel_hi:[0,1,0]
	v_accvgpr_write_b32 a79, v51
	v_mov_b32_e32 v27, v5
	s_waitcnt vmcnt(2)
	v_pk_mul_f32 v[4:5], v[38:39], v[124:125] op_sel_hi:[0,1]
	v_accvgpr_write_b32 a78, v50
	v_accvgpr_write_b32 a77, v49
	;; [unrolled: 1-line block ×3, first 2 shown]
	v_pk_fma_f32 v[48:49], v[186:187], v[124:125], v[4:5] op_sel:[0,0,1] op_sel_hi:[1,1,0] neg_lo:[0,0,1] neg_hi:[0,0,1]
	v_pk_fma_f32 v[4:5], v[186:187], v[124:125], v[4:5] op_sel:[0,0,1] op_sel_hi:[0,1,0]
	v_mov_b32_e32 v49, v5
	v_pk_mul_f32 v[4:5], v[166:167], v[126:127] op_sel_hi:[0,1]
	v_pk_fma_f32 v[50:51], v[34:35], v[126:127], v[4:5] op_sel:[0,0,1] op_sel_hi:[1,1,0] neg_lo:[0,0,1] neg_hi:[0,0,1]
	v_pk_fma_f32 v[4:5], v[34:35], v[126:127], v[4:5] op_sel:[0,0,1] op_sel_hi:[0,1,0]
	v_mov_b32_e32 v51, v5
	v_mov_b32_e32 v165, v57
	v_pk_add_f32 v[6:7], v[180:181], v[50:51] neg_lo:[0,1] neg_hi:[0,1]
	v_mov_b32_e32 v17, v59
	v_pk_add_f32 v[4:5], v[180:181], v[50:51]
	v_pk_add_f32 v[58:59], v[164:165], v[48:49] neg_lo:[0,1] neg_hi:[0,1]
	v_pk_mul_f32 v[32:33], v[6:7], s[20:21] op_sel:[1,0] op_sel_hi:[0,0]
	v_mov_b32_e32 v94, v158
	v_pk_add_f32 v[56:57], v[164:165], v[48:49]
	v_pk_fma_f32 v[38:39], v[4:5], s[38:39], v[32:33] op_sel_hi:[1,0,1]
	v_pk_fma_f32 v[32:33], v[4:5], s[38:39], v[32:33] op_sel_hi:[1,0,1] neg_lo:[0,0,1] neg_hi:[0,0,1]
	v_pk_mul_f32 v[156:157], v[58:59], s[12:13] op_sel:[1,0] op_sel_hi:[0,0]
	v_pk_fma_f32 v[104:105], v[66:67], v[92:93], v[54:55] op_sel:[1,0,0] op_sel_hi:[0,1,1]
	v_mov_b32_e32 v66, v38
	v_mov_b32_e32 v67, v33
	v_pk_fma_f32 v[158:159], v[56:57], s[30:31], v[156:157] op_sel_hi:[1,0,1]
	v_pk_fma_f32 v[156:157], v[56:57], s[30:31], v[156:157] op_sel_hi:[1,0,1] neg_lo:[0,0,1] neg_hi:[0,0,1]
	v_pk_add_f32 v[122:123], v[16:17], v[26:27] neg_lo:[0,1] neg_hi:[0,1]
	v_pk_add_f32 v[66:67], v[10:11], v[66:67]
	v_mov_b32_e32 v166, v158
	v_mov_b32_e32 v167, v157
	v_pk_add_f32 v[120:121], v[16:17], v[26:27]
	v_pk_add_f32 v[66:67], v[166:167], v[66:67]
	v_pk_mul_f32 v[166:167], v[122:123], s[24:25] op_sel:[1,0] op_sel_hi:[0,0]
	v_mov_b32_e32 v19, v31
	v_pk_fma_f32 v[168:169], v[120:121], s[28:29], v[166:167] op_sel_hi:[1,0,1]
	v_pk_fma_f32 v[166:167], v[120:121], s[28:29], v[166:167] op_sel_hi:[1,0,1] neg_lo:[0,0,1] neg_hi:[0,0,1]
	v_pk_add_f32 v[182:183], v[18:19], v[20:21] neg_lo:[0,1] neg_hi:[0,1]
	v_mov_b32_e32 v194, v168
	v_mov_b32_e32 v195, v167
	v_pk_add_f32 v[178:179], v[18:19], v[20:21]
	v_pk_add_f32 v[66:67], v[194:195], v[66:67]
	v_pk_mul_f32 v[194:195], v[182:183], s[22:23] op_sel:[1,0] op_sel_hi:[0,0]
	v_mov_b32_e32 v33, v39
	v_pk_fma_f32 v[196:197], v[178:179], s[34:35], v[194:195] op_sel_hi:[1,0,1]
	v_pk_fma_f32 v[194:195], v[178:179], s[34:35], v[194:195] op_sel_hi:[1,0,1] neg_lo:[0,0,1] neg_hi:[0,0,1]
	v_pk_add_f32 v[32:33], v[10:11], v[32:33]
	v_mov_b32_e32 v157, v159
	v_pk_add_f32 v[192:193], v[0:1], v[2:3] neg_lo:[0,1] neg_hi:[0,1]
	v_mov_b32_e32 v198, v196
	v_mov_b32_e32 v199, v195
	v_pk_add_f32 v[32:33], v[156:157], v[32:33]
	v_mov_b32_e32 v167, v169
	v_pk_add_f32 v[190:191], v[0:1], v[2:3]
	v_pk_add_f32 v[198:199], v[198:199], v[66:67]
	v_pk_mul_f32 v[66:67], v[192:193], s[14:15] op_sel:[1,0] op_sel_hi:[0,0]
	v_pk_add_f32 v[32:33], v[166:167], v[32:33]
	v_mov_b32_e32 v195, v197
	v_pk_add_f32 v[166:167], v[194:195], v[32:33]
	v_pk_fma_f32 v[32:33], v[190:191], s[36:37], v[66:67] op_sel_hi:[1,0,1] neg_lo:[0,0,1] neg_hi:[0,0,1]
	v_pk_fma_f32 v[194:195], v[190:191], s[36:37], v[66:67] op_sel_hi:[1,0,1]
	v_mov_b32_e32 v168, v32
	v_mov_b32_e32 v169, v195
	;; [unrolled: 1-line block ×3, first 2 shown]
	v_pk_mul_f32 v[32:33], v[6:7], s[16:17] op_sel:[1,0] op_sel_hi:[0,0]
	v_pk_mul_f32 v[28:29], v[6:7], s[0:1] op_sel:[1,0] op_sel_hi:[0,0]
	v_pk_fma_f32 v[38:39], v[4:5], s[34:35], v[32:33] op_sel_hi:[1,0,1]
	v_pk_fma_f32 v[156:157], v[4:5], s[34:35], v[32:33] op_sel_hi:[1,0,1] neg_lo:[0,0,1] neg_hi:[0,0,1]
	v_pk_mul_f32 v[66:67], v[58:59], s[24:25] op_sel:[1,0] op_sel_hi:[0,0]
	v_pk_fma_f32 v[52:53], v[4:5], s[28:29], v[28:29] op_sel_hi:[1,0,1]
	v_pk_fma_f32 v[54:55], v[4:5], s[28:29], v[28:29] op_sel_hi:[1,0,1] neg_lo:[0,0,1] neg_hi:[0,0,1]
	v_pk_mul_f32 v[30:31], v[58:59], s[14:15] op_sel:[1,0] op_sel_hi:[0,0]
	v_mov_b32_e32 v32, v38
	v_mov_b32_e32 v33, v157
	v_pk_fma_f32 v[158:159], v[56:57], s[28:29], v[66:67] op_sel_hi:[1,0,1]
	v_pk_fma_f32 v[196:197], v[56:57], s[28:29], v[66:67] op_sel_hi:[1,0,1] neg_lo:[0,0,1] neg_hi:[0,0,1]
	v_mov_b32_e32 v28, v52
	v_mov_b32_e32 v29, v55
	v_pk_fma_f32 v[116:117], v[56:57], s[36:37], v[30:31] op_sel_hi:[1,0,1]
	v_pk_fma_f32 v[118:119], v[56:57], s[36:37], v[30:31] op_sel_hi:[1,0,1] neg_lo:[0,0,1] neg_hi:[0,0,1]
	v_pk_add_f32 v[32:33], v[10:11], v[32:33]
	v_mov_b32_e32 v66, v158
	v_mov_b32_e32 v67, v197
	v_pk_add_f32 v[28:29], v[10:11], v[28:29]
	v_mov_b32_e32 v30, v116
	v_mov_b32_e32 v31, v119
	v_pk_add_f32 v[32:33], v[66:67], v[32:33]
	v_pk_mul_f32 v[66:67], v[122:123], s[26:27] op_sel:[1,0] op_sel_hi:[0,0]
	v_accvgpr_write_b32 a90, v124
	v_pk_add_f32 v[28:29], v[30:31], v[28:29]
	v_pk_mul_f32 v[30:31], v[122:123], s[12:13] op_sel:[1,0] op_sel_hi:[0,0]
	v_pk_fma_f32 v[200:201], v[120:121], s[38:39], v[66:67] op_sel_hi:[1,0,1]
	v_pk_fma_f32 v[202:203], v[120:121], s[38:39], v[66:67] op_sel_hi:[1,0,1] neg_lo:[0,0,1] neg_hi:[0,0,1]
	v_accvgpr_write_b32 a91, v125
	v_accvgpr_write_b32 a92, v126
	;; [unrolled: 1-line block ×3, first 2 shown]
	v_pk_fma_f32 v[124:125], v[120:121], s[30:31], v[30:31] op_sel_hi:[1,0,1]
	v_pk_fma_f32 v[126:127], v[120:121], s[30:31], v[30:31] op_sel_hi:[1,0,1] neg_lo:[0,0,1] neg_hi:[0,0,1]
	v_mov_b32_e32 v66, v200
	v_mov_b32_e32 v67, v203
	;; [unrolled: 1-line block ×5, first 2 shown]
	v_pk_add_f32 v[32:33], v[66:67], v[32:33]
	v_pk_mul_f32 v[66:67], v[182:183], s[18:19] op_sel:[1,0] op_sel_hi:[0,0]
	v_mov_b32_e32 v197, v159
	v_pk_add_f32 v[156:157], v[10:11], v[156:157]
	v_pk_add_f32 v[28:29], v[30:31], v[28:29]
	v_pk_mul_f32 v[30:31], v[182:183], s[26:27] op_sel:[1,0] op_sel_hi:[0,0]
	v_pk_fma_f32 v[204:205], v[178:179], s[36:37], v[66:67] op_sel_hi:[1,0,1]
	v_pk_fma_f32 v[206:207], v[178:179], s[36:37], v[66:67] op_sel_hi:[1,0,1] neg_lo:[0,0,1] neg_hi:[0,0,1]
	v_pk_add_f32 v[196:197], v[196:197], v[156:157]
	v_mov_b32_e32 v203, v201
	v_pk_add_f32 v[38:39], v[168:169], v[166:167]
	v_pk_mul_f32 v[168:169], v[192:193], s[12:13] op_sel:[1,0] op_sel_hi:[0,0]
	v_pk_fma_f32 v[184:185], v[178:179], s[38:39], v[30:31] op_sel_hi:[1,0,1]
	v_pk_fma_f32 v[186:187], v[178:179], s[38:39], v[30:31] op_sel_hi:[1,0,1] neg_lo:[0,0,1] neg_hi:[0,0,1]
	v_mov_b32_e32 v67, v207
	v_pk_add_f32 v[166:167], v[202:203], v[196:197]
	v_mov_b32_e32 v207, v205
	v_pk_fma_f32 v[196:197], v[190:191], s[30:31], v[168:169] op_sel_hi:[1,0,1] neg_lo:[0,0,1] neg_hi:[0,0,1]
	v_pk_fma_f32 v[200:201], v[190:191], s[30:31], v[168:169] op_sel_hi:[1,0,1]
	v_accvgpr_write_b32 a75, v43
	v_mov_b32_e32 v30, v184
	v_mov_b32_e32 v31, v187
	v_pk_add_f32 v[166:167], v[206:207], v[166:167]
	v_mov_b32_e32 v168, v196
	v_mov_b32_e32 v169, v201
	v_accvgpr_write_b32 a74, v42
	v_accvgpr_write_b32 a73, v41
	;; [unrolled: 1-line block ×3, first 2 shown]
	v_pk_add_f32 v[188:189], v[30:31], v[28:29]
	v_pk_mul_f32 v[30:31], v[6:7], s[18:19] op_sel:[1,0] op_sel_hi:[0,0]
	v_pk_add_f32 v[40:41], v[168:169], v[166:167]
	v_pk_fma_f32 v[28:29], v[4:5], s[36:37], v[30:31] op_sel_hi:[1,0,1]
	v_accvgpr_write_b32 a97, v41
	v_pk_mul_f32 v[6:7], v[6:7], s[12:13] op_sel:[1,0] op_sel_hi:[0,0]
	v_accvgpr_write_b32 a8, v28
	v_pk_fma_f32 v[30:31], v[4:5], s[36:37], v[30:31] op_sel_hi:[1,0,1] neg_lo:[0,0,1] neg_hi:[0,0,1]
	v_pk_mul_f32 v[34:35], v[58:59], s[20:21] op_sel:[1,0] op_sel_hi:[0,0]
	v_accvgpr_write_b32 a96, v40
	v_accvgpr_write_b32 a95, v39
	;; [unrolled: 1-line block ×3, first 2 shown]
	v_pk_add_f32 v[40:41], v[194:195], v[198:199]
	v_pk_fma_f32 v[194:195], v[4:5], s[30:31], v[6:7] op_sel_hi:[1,0,1]
	v_pk_fma_f32 v[4:5], v[4:5], s[30:31], v[6:7] op_sel_hi:[1,0,1] neg_lo:[0,0,1] neg_hi:[0,0,1]
	v_pk_mul_f32 v[58:59], v[58:59], s[22:23] op_sel:[1,0] op_sel_hi:[0,0]
	v_accvgpr_write_b32 a9, v29
	v_pk_fma_f32 v[28:29], v[56:57], s[38:39], v[34:35] op_sel_hi:[1,0,1]
	v_pk_fma_f32 v[34:35], v[56:57], s[38:39], v[34:35] op_sel_hi:[1,0,1] neg_lo:[0,0,1] neg_hi:[0,0,1]
	v_mov_b32_e32 v201, v197
	v_mov_b32_e32 v6, v194
	;; [unrolled: 1-line block ×3, first 2 shown]
	v_pk_fma_f32 v[196:197], v[56:57], s[34:35], v[58:59] op_sel_hi:[1,0,1]
	v_pk_fma_f32 v[56:57], v[56:57], s[34:35], v[58:59] op_sel_hi:[1,0,1] neg_lo:[0,0,1] neg_hi:[0,0,1]
	v_pk_add_f32 v[6:7], v[10:11], v[6:7]
	v_mov_b32_e32 v58, v196
	v_mov_b32_e32 v59, v57
	;; [unrolled: 1-line block ×3, first 2 shown]
	v_pk_add_f32 v[6:7], v[58:59], v[6:7]
	v_pk_mul_f32 v[58:59], v[122:123], s[18:19] op_sel:[1,0] op_sel_hi:[0,0]
	v_pk_add_f32 v[208:209], v[66:67], v[32:33]
	v_accvgpr_write_b32 a10, v28
	v_pk_mul_f32 v[66:67], v[122:123], s[16:17] op_sel:[1,0] op_sel_hi:[0,0]
	v_pk_fma_f32 v[122:123], v[120:121], s[36:37], v[58:59] op_sel_hi:[1,0,1]
	v_pk_fma_f32 v[58:59], v[120:121], s[36:37], v[58:59] op_sel_hi:[1,0,1] neg_lo:[0,0,1] neg_hi:[0,0,1]
	v_accvgpr_write_b32 a11, v29
	v_pk_fma_f32 v[28:29], v[120:121], s[34:35], v[66:67] op_sel_hi:[1,0,1]
	v_pk_fma_f32 v[66:67], v[120:121], s[34:35], v[66:67] op_sel_hi:[1,0,1] neg_lo:[0,0,1] neg_hi:[0,0,1]
	v_mov_b32_e32 v120, v122
	v_mov_b32_e32 v121, v59
	v_pk_add_f32 v[6:7], v[120:121], v[6:7]
	v_pk_mul_f32 v[120:121], v[182:183], s[0:1] op_sel:[1,0] op_sel_hi:[0,0]
	v_accvgpr_write_b32 a12, v28
	v_pk_mul_f32 v[158:159], v[182:183], s[12:13] op_sel:[1,0] op_sel_hi:[0,0]
	v_pk_fma_f32 v[182:183], v[178:179], s[28:29], v[120:121] op_sel_hi:[1,0,1]
	v_pk_fma_f32 v[120:121], v[178:179], s[28:29], v[120:121] op_sel_hi:[1,0,1] neg_lo:[0,0,1] neg_hi:[0,0,1]
	v_mov_b32_e32 v5, v195
	v_accvgpr_write_b32 a13, v29
	v_pk_fma_f32 v[28:29], v[178:179], s[30:31], v[158:159] op_sel_hi:[1,0,1]
	v_pk_fma_f32 v[158:159], v[178:179], s[30:31], v[158:159] op_sel_hi:[1,0,1] neg_lo:[0,0,1] neg_hi:[0,0,1]
	v_mov_b32_e32 v178, v182
	v_mov_b32_e32 v179, v121
	v_pk_add_f32 v[4:5], v[10:11], v[4:5]
	v_mov_b32_e32 v57, v197
	v_pk_add_f32 v[6:7], v[178:179], v[6:7]
	v_pk_mul_f32 v[178:179], v[192:193], s[26:27] op_sel:[1,0] op_sel_hi:[0,0]
	v_pk_add_f32 v[4:5], v[56:57], v[4:5]
	v_mov_b32_e32 v59, v123
	v_pk_add_f32 v[4:5], v[58:59], v[4:5]
	v_mov_b32_e32 v121, v183
	v_pk_fma_f32 v[56:57], v[190:191], s[38:39], v[178:179] op_sel_hi:[1,0,1] neg_lo:[0,0,1] neg_hi:[0,0,1]
	v_pk_fma_f32 v[58:59], v[190:191], s[38:39], v[178:179] op_sel_hi:[1,0,1]
	v_pk_add_f32 v[4:5], v[120:121], v[4:5]
	v_mov_b32_e32 v121, v59
	v_mov_b32_e32 v59, v57
	;; [unrolled: 1-line block ×3, first 2 shown]
	v_pk_add_f32 v[38:39], v[200:201], v[208:209]
	v_mov_b32_e32 v120, v56
	v_accvgpr_write_b32 a101, v41
	v_pk_add_f32 v[42:43], v[58:59], v[6:7]
	v_pk_add_f32 v[6:7], v[10:11], v[54:55]
	v_mov_b32_e32 v119, v117
	v_accvgpr_write_b32 a100, v40
	v_accvgpr_write_b32 a99, v39
	;; [unrolled: 1-line block ×3, first 2 shown]
	v_pk_add_f32 v[38:39], v[120:121], v[4:5]
	v_pk_mul_f32 v[4:5], v[192:193], s[16:17] op_sel:[1,0] op_sel_hi:[0,0]
	v_pk_add_f32 v[6:7], v[118:119], v[6:7]
	v_mov_b32_e32 v127, v125
	v_pk_add_f32 v[6:7], v[126:127], v[6:7]
	v_mov_b32_e32 v187, v185
	v_pk_fma_f32 v[52:53], v[190:191], s[34:35], v[4:5] op_sel_hi:[1,0,1] neg_lo:[0,0,1] neg_hi:[0,0,1]
	v_pk_fma_f32 v[4:5], v[190:191], s[34:35], v[4:5] op_sel_hi:[1,0,1]
	v_pk_add_f32 v[6:7], v[186:187], v[6:7]
	v_mov_b32_e32 v54, v52
	v_mov_b32_e32 v55, v5
	v_pk_add_f32 v[40:41], v[54:55], v[6:7]
	v_mov_b32_e32 v5, v53
	v_accvgpr_write_b32 a105, v41
	v_accvgpr_write_b32 a104, v40
	;; [unrolled: 1-line block ×4, first 2 shown]
	v_pk_add_f32 v[40:41], v[4:5], v[188:189]
	v_pk_mul_f32 v[4:5], v[148:149], v[214:215] op_sel_hi:[1,0]
	v_mov_b32_e32 v118, v106
	v_pk_fma_f32 v[6:7], v[148:149], v[94:95], v[4:5] op_sel:[0,0,1] op_sel_hi:[1,1,0] neg_lo:[0,0,1] neg_hi:[0,0,1]
	v_pk_fma_f32 v[4:5], v[148:149], v[94:95], v[4:5] op_sel:[0,0,1] op_sel_hi:[1,0,0]
	v_mov_b32_e32 v119, v104
	v_mov_b32_e32 v7, v5
	v_pk_mul_f32 v[4:5], v[98:99], v[108:109] op_sel:[0,1]
	v_pk_add_f32 v[118:119], v[132:133], v[118:119]
	v_pk_fma_f32 v[52:53], v[98:99], v[108:109], v[4:5] op_sel:[0,0,1] op_sel_hi:[1,1,0] neg_lo:[0,0,1] neg_hi:[0,0,1]
	v_pk_fma_f32 v[4:5], v[98:99], v[108:109], v[4:5] op_sel:[0,0,1] op_sel_hi:[1,0,0]
	v_pk_add_f32 v[118:119], v[118:119], v[6:7]
	v_mov_b32_e32 v53, v5
	v_pk_mul_f32 v[4:5], v[152:153], v[216:217] op_sel_hi:[1,0]
	v_pk_add_f32 v[118:119], v[118:119], v[52:53]
	v_pk_fma_f32 v[54:55], v[152:153], v[110:111], v[4:5] op_sel:[0,0,1] op_sel_hi:[1,1,0] neg_lo:[0,0,1] neg_hi:[0,0,1]
	v_pk_fma_f32 v[4:5], v[152:153], v[110:111], v[4:5] op_sel:[0,0,1] op_sel_hi:[1,0,0]
	v_accvgpr_write_b32 a109, v43
	v_mov_b32_e32 v55, v5
	v_pk_mul_f32 v[4:5], v[78:79], v[88:89] op_sel:[0,1]
	v_pk_add_f32 v[118:119], v[118:119], v[54:55]
	v_pk_fma_f32 v[56:57], v[78:79], v[88:89], v[4:5] op_sel:[0,0,1] op_sel_hi:[1,1,0] neg_lo:[0,0,1] neg_hi:[0,0,1]
	v_pk_fma_f32 v[4:5], v[78:79], v[88:89], v[4:5] op_sel:[0,0,1] op_sel_hi:[1,0,0]
	v_accvgpr_write_b32 a108, v42
	v_mov_b32_e32 v57, v5
	v_pk_mul_f32 v[4:5], v[144:145], v[218:219] op_sel_hi:[1,0]
	v_pk_add_f32 v[118:119], v[118:119], v[56:57]
	v_pk_fma_f32 v[58:59], v[144:145], v[90:91], v[4:5] op_sel:[0,0,1] op_sel_hi:[1,1,0] neg_lo:[0,0,1] neg_hi:[0,0,1]
	v_pk_fma_f32 v[4:5], v[144:145], v[90:91], v[4:5] op_sel:[0,0,1] op_sel_hi:[1,0,0]
	v_accvgpr_write_b32 a107, v41
	v_mov_b32_e32 v59, v5
	v_pk_mul_f32 v[4:5], v[74:75], v[160:161] op_sel:[0,1]
	v_pk_add_f32 v[118:119], v[118:119], v[58:59]
	v_pk_fma_f32 v[78:79], v[74:75], v[160:161], v[4:5] op_sel:[0,0,1] op_sel_hi:[1,1,0] neg_lo:[0,0,1] neg_hi:[0,0,1]
	v_pk_fma_f32 v[4:5], v[74:75], v[160:161], v[4:5] op_sel:[0,0,1] op_sel_hi:[1,0,0]
	v_accvgpr_write_b32 a106, v40
	v_mov_b32_e32 v79, v5
	v_pk_mul_f32 v[4:5], v[140:141], v[220:221] op_sel_hi:[1,0]
	v_pk_add_f32 v[118:119], v[118:119], v[78:79]
	v_pk_fma_f32 v[74:75], v[140:141], v[162:163], v[4:5] op_sel:[0,0,1] op_sel_hi:[1,1,0] neg_lo:[0,0,1] neg_hi:[0,0,1]
	v_pk_fma_f32 v[4:5], v[140:141], v[162:163], v[4:5] op_sel:[0,0,1] op_sel_hi:[1,0,0]
	v_mov_b32_e32 v43, v104
	v_mov_b32_e32 v75, v5
	v_pk_mul_f32 v[4:5], v[70:71], v[224:225] op_sel:[0,1]
	v_pk_add_f32 v[118:119], v[118:119], v[74:75]
	v_pk_fma_f32 v[98:99], v[70:71], v[224:225], v[4:5] op_sel:[0,0,1] op_sel_hi:[1,1,0] neg_lo:[0,0,1] neg_hi:[0,0,1]
	v_pk_fma_f32 v[4:5], v[70:71], v[224:225], v[4:5] op_sel:[0,0,1] op_sel_hi:[1,0,0]
	v_pk_mul_f32 v[168:169], v[192:193], s[0:1] op_sel:[1,0] op_sel_hi:[0,0]
	v_mov_b32_e32 v99, v5
	v_pk_mul_f32 v[4:5], v[136:137], v[222:223] op_sel_hi:[1,0]
	v_pk_add_f32 v[118:119], v[118:119], v[98:99]
	v_pk_fma_f32 v[116:117], v[136:137], v[226:227], v[4:5] op_sel:[0,0,1] op_sel_hi:[1,0,0] neg_lo:[0,0,1] neg_hi:[0,0,1]
	v_pk_fma_f32 v[4:5], v[136:137], v[226:227], v[4:5] op_sel:[0,0,1] op_sel_hi:[1,0,0]
	v_mov_b32_e32 v70, v116
	v_mov_b32_e32 v71, v5
	v_pk_add_f32 v[192:193], v[118:119], v[70:71]
	v_pk_add_f32 v[194:195], v[106:107], v[116:117]
	v_pk_add_f32 v[70:71], v[42:43], v[4:5]
	v_pk_add_f32 v[106:107], v[106:107], v[116:117] neg_lo:[0,1] neg_hi:[0,1]
	v_mov_b32_e32 v4, v5
	v_pk_add_f32 v[4:5], v[104:105], v[4:5] neg_lo:[0,1] neg_hi:[0,1]
	v_pk_add_f32 v[196:197], v[6:7], v[98:99]
	v_pk_add_f32 v[6:7], v[6:7], v[98:99] neg_lo:[0,1] neg_hi:[0,1]
	v_mov_b32_e32 v195, v106
	s_mov_b32 s37, s18
	v_pk_add_f32 v[198:199], v[52:53], v[74:75]
	v_pk_add_f32 v[52:53], v[52:53], v[74:75] neg_lo:[0,1] neg_hi:[0,1]
	v_mov_b32_e32 v70, v4
	s_mov_b32 s19, s36
	v_pk_mul_f32 v[136:137], v[194:195], s[36:37]
	v_mov_b32_e32 v141, v197
	v_mov_b32_e32 v197, v6
	s_mov_b32 s39, s20
	v_pk_add_f32 v[200:201], v[54:55], v[78:79]
	v_pk_add_f32 v[54:55], v[54:55], v[78:79] neg_lo:[0,1] neg_hi:[0,1]
	v_pk_add_f32 v[202:203], v[56:57], v[58:59]
	v_pk_add_f32 v[56:57], v[56:57], v[58:59] neg_lo:[0,1] neg_hi:[0,1]
	v_pk_fma_f32 v[58:59], v[4:5], s[18:19], v[136:137] neg_lo:[1,0,0] neg_hi:[1,0,0]
	v_pk_fma_f32 v[78:79], v[70:71], s[18:19], v[136:137]
	v_mov_b32_e32 v140, v7
	s_mov_b32 s21, s38
	v_pk_mul_f32 v[178:179], v[196:197], s[38:39]
	v_mov_b32_e32 v183, v199
	v_mov_b32_e32 v199, v52
	s_mov_b32 s35, s16
	v_mov_b32_e32 v59, v79
	v_pk_fma_f32 v[6:7], v[140:141], s[20:21], v[178:179] neg_lo:[1,0,0] neg_hi:[1,0,0]
	v_pk_fma_f32 v[152:153], v[140:141], s[20:21], v[178:179]
	v_mov_b32_e32 v182, v53
	s_mov_b32 s17, s34
	v_pk_mul_f32 v[186:187], v[198:199], s[34:35]
	v_accvgpr_write_b32 a16, v28
	v_pk_add_f32 v[58:59], v[132:133], v[58:59]
	v_mov_b32_e32 v7, v153
	v_pk_fma_f32 v[52:53], v[182:183], s[16:17], v[186:187] neg_lo:[1,0,0] neg_hi:[1,0,0]
	v_pk_fma_f32 v[184:185], v[182:183], s[16:17], v[186:187]
	v_mov_b32_e32 v189, v201
	v_mov_b32_e32 v201, v54
	s_mov_b32 s31, s12
	v_accvgpr_write_b32 a17, v29
	v_pk_fma_f32 v[28:29], v[190:191], s[28:29], v[168:169] op_sel_hi:[1,0,1]
	v_pk_fma_f32 v[168:169], v[190:191], s[28:29], v[168:169] op_sel_hi:[1,0,1] neg_lo:[0,0,1] neg_hi:[0,0,1]
	v_pk_add_f32 v[6:7], v[6:7], v[58:59]
	v_mov_b32_e32 v53, v185
	v_mov_b32_e32 v188, v55
	s_mov_b32 s13, s30
	v_pk_mul_f32 v[190:191], v[200:201], s[30:31]
	v_pk_add_f32 v[6:7], v[52:53], v[6:7]
	v_pk_fma_f32 v[52:53], v[188:189], s[12:13], v[190:191] neg_lo:[1,0,0] neg_hi:[1,0,0]
	v_pk_fma_f32 v[74:75], v[188:189], s[12:13], v[190:191]
	v_mov_b32_e32 v99, v203
	v_mov_b32_e32 v203, v56
	s_mov_b32 s29, s0
	v_mov_b32_e32 v53, v75
	v_mov_b32_e32 v98, v57
	s_mov_b32 s1, s28
	v_pk_mul_f32 v[144:145], v[202:203], s[28:29]
	v_accvgpr_write_b32 a6, v28
	v_pk_add_f32 v[6:7], v[52:53], v[6:7]
	v_pk_fma_f32 v[52:53], v[98:99], s[0:1], v[144:145] neg_lo:[1,0,0] neg_hi:[1,0,0]
	v_pk_fma_f32 v[148:149], v[98:99], s[0:1], v[144:145]
	v_accvgpr_write_b32 a7, v29
	v_mov_b32_e32 v53, v149
	v_mul_u32_u24_e32 v28, 0x4d, v210
	v_accvgpr_write_b32 a83, v63
	v_accvgpr_write_b32 a124, v94
	v_pk_add_f32 v[6:7], v[52:53], v[6:7]
	v_add_lshl_u32 v40, v28, v211, 3
	v_accvgpr_write_b32 a82, v62
	v_accvgpr_write_b32 a81, v61
	;; [unrolled: 1-line block ×5, first 2 shown]
	global_load_dwordx4 v[92:95], v212, s[10:11] offset:32
	global_load_dwordx4 v[60:63], v212, s[10:11] offset:16
	;; [unrolled: 1-line block ×6, first 2 shown]
	s_waitcnt lgkmcnt(0)
	; wave barrier
	s_waitcnt lgkmcnt(0)
	ds_write2_b64 v40, v[192:193], v[6:7] offset1:7
	v_pk_mul_f32 v[6:7], v[194:195], s[38:39]
	v_pk_mul_f32 v[56:57], v[196:197], s[30:31]
	v_pk_fma_f32 v[52:53], v[4:5], s[20:21], v[6:7] neg_lo:[1,0,0] neg_hi:[1,0,0]
	v_pk_fma_f32 v[54:55], v[70:71], s[20:21], v[6:7]
	v_pk_fma_f32 v[58:59], v[140:141], s[12:13], v[56:57] neg_lo:[1,0,0] neg_hi:[1,0,0]
	v_mov_b32_e32 v53, v55
	v_pk_fma_f32 v[192:193], v[140:141], s[12:13], v[56:57]
	v_pk_add_f32 v[52:53], v[132:133], v[52:53]
	v_mov_b32_e32 v59, v193
	v_pk_add_f32 v[52:53], v[58:59], v[52:53]
	s_mov_b32 s25, s28
	v_pk_mul_f32 v[58:59], v[198:199], s[46:47]
	s_mov_b32 s23, s34
	v_pk_fma_f32 v[204:205], v[182:183], s[24:25], v[58:59] neg_lo:[1,0,0] neg_hi:[1,0,0]
	v_pk_fma_f32 v[206:207], v[182:183], s[24:25], v[58:59]
	s_mov_b32 s15, s36
	v_mov_b32_e32 v205, v207
	v_pk_add_f32 v[52:53], v[204:205], v[52:53]
	v_pk_mul_f32 v[204:205], v[200:201], s[44:45]
	v_pk_mul_f32 v[220:221], v[196:197], s[46:47]
	v_pk_fma_f32 v[208:209], v[188:189], s[22:23], v[204:205] neg_lo:[1,0,0] neg_hi:[1,0,0]
	v_pk_fma_f32 v[210:211], v[188:189], s[22:23], v[204:205]
	v_pk_fma_f32 v[222:223], v[140:141], s[24:25], v[220:221] neg_lo:[1,0,0] neg_hi:[1,0,0]
	v_mov_b32_e32 v209, v211
	v_pk_add_f32 v[52:53], v[208:209], v[52:53]
	v_pk_mul_f32 v[208:209], v[202:203], s[40:41]
	v_pk_fma_f32 v[224:225], v[140:141], s[24:25], v[220:221]
	v_pk_fma_f32 v[212:213], v[98:99], s[14:15], v[208:209] neg_lo:[1,0,0] neg_hi:[1,0,0]
	v_pk_fma_f32 v[214:215], v[98:99], s[14:15], v[208:209]
	v_mov_b32_e32 v223, v225
	v_mov_b32_e32 v213, v215
	v_pk_add_f32 v[52:53], v[212:213], v[52:53]
	v_pk_mul_f32 v[212:213], v[194:195], s[34:35]
	s_mov_b32 s27, s38
	v_pk_fma_f32 v[216:217], v[4:5], s[16:17], v[212:213] neg_lo:[1,0,0] neg_hi:[1,0,0]
	v_pk_fma_f32 v[218:219], v[70:71], s[16:17], v[212:213]
	v_pk_mul_f32 v[238:239], v[196:197], s[44:45]
	v_mov_b32_e32 v217, v219
	v_pk_add_f32 v[216:217], v[132:133], v[216:217]
	v_pk_fma_f32 v[240:241], v[140:141], s[22:23], v[238:239] neg_lo:[1,0,0] neg_hi:[1,0,0]
	v_pk_add_f32 v[216:217], v[222:223], v[216:217]
	v_pk_mul_f32 v[222:223], v[198:199], s[42:43]
	v_pk_fma_f32 v[242:243], v[140:141], s[22:23], v[238:239]
	v_pk_fma_f32 v[226:227], v[182:183], s[26:27], v[222:223] neg_lo:[1,0,0] neg_hi:[1,0,0]
	v_pk_fma_f32 v[228:229], v[182:183], s[26:27], v[222:223]
	v_mov_b32_e32 v241, v243
	v_mov_b32_e32 v227, v229
	v_pk_add_f32 v[216:217], v[226:227], v[216:217]
	v_pk_mul_f32 v[226:227], v[200:201], s[36:37]
	v_pk_mul_f32 v[196:197], v[196:197], s[40:41]
	v_pk_fma_f32 v[230:231], v[188:189], s[18:19], v[226:227] neg_lo:[1,0,0] neg_hi:[1,0,0]
	v_pk_fma_f32 v[232:233], v[188:189], s[18:19], v[226:227]
	v_pk_fma_f32 v[28:29], v[140:141], s[14:15], v[196:197] neg_lo:[1,0,0] neg_hi:[1,0,0]
	v_mov_b32_e32 v231, v233
	v_pk_add_f32 v[216:217], v[230:231], v[216:217]
	v_pk_mul_f32 v[230:231], v[202:203], s[30:31]
	v_pk_fma_f32 v[32:33], v[140:141], s[14:15], v[196:197]
	v_pk_fma_f32 v[234:235], v[98:99], s[12:13], v[230:231] neg_lo:[1,0,0] neg_hi:[1,0,0]
	v_pk_fma_f32 v[236:237], v[98:99], s[12:13], v[230:231]
	v_mov_b32_e32 v29, v33
	v_mov_b32_e32 v235, v237
	v_pk_add_f32 v[216:217], v[234:235], v[216:217]
	ds_write2_b64 v40, v[52:53], v[216:217] offset0:14 offset1:21
	v_pk_mul_f32 v[52:53], v[194:195], s[30:31]
	v_pk_mul_f32 v[194:195], v[194:195], s[28:29]
	v_pk_fma_f32 v[216:217], v[4:5], s[12:13], v[52:53] neg_lo:[1,0,0] neg_hi:[1,0,0]
	v_pk_fma_f32 v[234:235], v[70:71], s[12:13], v[52:53]
	v_pk_fma_f32 v[4:5], v[4:5], s[0:1], v[194:195] neg_lo:[1,0,0] neg_hi:[1,0,0]
	v_mov_b32_e32 v217, v235
	v_pk_add_f32 v[216:217], v[132:133], v[216:217]
	v_pk_fma_f32 v[6:7], v[70:71], s[20:21], v[6:7] neg_lo:[0,0,1] neg_hi:[0,0,1]
	v_pk_add_f32 v[216:217], v[240:241], v[216:217]
	v_pk_mul_f32 v[240:241], v[198:199], s[36:37]
	v_mov_b32_e32 v55, v7
	v_pk_fma_f32 v[244:245], v[182:183], s[18:19], v[240:241] neg_lo:[1,0,0] neg_hi:[1,0,0]
	v_pk_fma_f32 v[248:249], v[182:183], s[18:19], v[240:241]
	v_pk_fma_f32 v[6:7], v[140:141], s[12:13], v[56:57] neg_lo:[0,0,1] neg_hi:[0,0,1]
	v_mov_b32_e32 v245, v249
	v_pk_add_f32 v[216:217], v[244:245], v[216:217]
	v_pk_mul_f32 v[244:245], v[200:201], s[28:29]
	v_mov_b32_e32 v193, v7
	v_pk_fma_f32 v[250:251], v[188:189], s[0:1], v[244:245] neg_lo:[1,0,0] neg_hi:[1,0,0]
	v_pk_fma_f32 v[252:253], v[188:189], s[0:1], v[244:245]
	v_pk_add_f32 v[6:7], v[132:133], v[54:55]
	v_mov_b32_e32 v251, v253
	v_pk_add_f32 v[216:217], v[250:251], v[216:217]
	v_pk_mul_f32 v[250:251], v[202:203], s[42:43]
	v_pk_add_f32 v[6:7], v[192:193], v[6:7]
	v_pk_fma_f32 v[254:255], v[98:99], s[26:27], v[250:251] neg_lo:[1,0,0] neg_hi:[1,0,0]
	v_pk_fma_f32 v[246:247], v[98:99], s[26:27], v[250:251]
	s_waitcnt vmcnt(5)
	v_mov_b32_e32 v42, v95
	v_mov_b32_e32 v255, v247
	v_pk_add_f32 v[216:217], v[254:255], v[216:217]
	v_pk_fma_f32 v[254:255], v[70:71], s[0:1], v[194:195]
	s_waitcnt vmcnt(3)
	v_mov_b32_e32 v56, v119
	v_mov_b32_e32 v5, v255
	v_pk_add_f32 v[4:5], v[132:133], v[4:5]
	v_accvgpr_write_b32 a111, v40
	v_pk_add_f32 v[4:5], v[28:29], v[4:5]
	v_pk_mul_f32 v[28:29], v[198:199], s[30:31]
	v_accvgpr_write_b32 a150, v46
	v_pk_fma_f32 v[198:199], v[182:183], s[12:13], v[28:29] neg_lo:[1,0,0] neg_hi:[1,0,0]
	v_pk_fma_f32 v[38:39], v[182:183], s[12:13], v[28:29]
	v_pk_fma_f32 v[28:29], v[182:183], s[12:13], v[28:29] neg_lo:[0,0,1] neg_hi:[0,0,1]
	v_mov_b32_e32 v199, v39
	v_pk_add_f32 v[4:5], v[198:199], v[4:5]
	v_pk_mul_f32 v[198:199], v[200:201], s[42:43]
	v_mov_b32_e32 v39, v29
	v_pk_fma_f32 v[200:201], v[188:189], s[26:27], v[198:199] neg_lo:[1,0,0] neg_hi:[1,0,0]
	v_pk_fma_f32 v[156:157], v[188:189], s[26:27], v[198:199]
	v_pk_fma_f32 v[28:29], v[188:189], s[26:27], v[198:199] neg_lo:[0,0,1] neg_hi:[0,0,1]
	v_mov_b32_e32 v201, v157
	v_pk_add_f32 v[4:5], v[200:201], v[4:5]
	v_pk_mul_f32 v[200:201], v[202:203], s[34:35]
	v_mov_b32_e32 v157, v29
	v_pk_fma_f32 v[202:203], v[98:99], s[16:17], v[200:201] neg_lo:[1,0,0] neg_hi:[1,0,0]
	v_pk_fma_f32 v[166:167], v[98:99], s[16:17], v[200:201]
	v_pk_fma_f32 v[28:29], v[98:99], s[16:17], v[200:201] neg_lo:[0,0,1] neg_hi:[0,0,1]
	v_mov_b32_e32 v203, v167
	v_pk_add_f32 v[4:5], v[202:203], v[4:5]
	ds_write2_b64 v40, v[216:217], v[4:5] offset0:28 offset1:35
	v_pk_fma_f32 v[4:5], v[70:71], s[0:1], v[194:195] neg_lo:[0,0,1] neg_hi:[0,0,1]
	v_mov_b32_e32 v167, v29
	v_mov_b32_e32 v255, v5
	v_pk_fma_f32 v[4:5], v[140:141], s[14:15], v[196:197] neg_lo:[0,0,1] neg_hi:[0,0,1]
	v_pk_fma_f32 v[28:29], v[70:71], s[12:13], v[52:53] neg_lo:[0,0,1] neg_hi:[0,0,1]
	v_mov_b32_e32 v33, v5
	v_pk_add_f32 v[4:5], v[132:133], v[254:255]
	v_mov_b32_e32 v235, v29
	v_pk_fma_f32 v[28:29], v[140:141], s[22:23], v[238:239] neg_lo:[0,0,1] neg_hi:[0,0,1]
	v_pk_add_f32 v[4:5], v[32:33], v[4:5]
	v_mov_b32_e32 v243, v29
	v_pk_add_f32 v[28:29], v[132:133], v[234:235]
	v_pk_fma_f32 v[32:33], v[182:183], s[18:19], v[240:241] neg_lo:[0,0,1] neg_hi:[0,0,1]
	v_pk_add_f32 v[28:29], v[242:243], v[28:29]
	v_mov_b32_e32 v249, v33
	v_pk_fma_f32 v[32:33], v[188:189], s[0:1], v[244:245] neg_lo:[0,0,1] neg_hi:[0,0,1]
	v_pk_add_f32 v[4:5], v[38:39], v[4:5]
	v_pk_add_f32 v[28:29], v[248:249], v[28:29]
	v_mov_b32_e32 v253, v33
	v_pk_fma_f32 v[32:33], v[98:99], s[26:27], v[250:251] neg_lo:[0,0,1] neg_hi:[0,0,1]
	v_pk_add_f32 v[4:5], v[156:157], v[4:5]
	v_pk_add_f32 v[28:29], v[252:253], v[28:29]
	v_mov_b32_e32 v247, v33
	v_pk_add_f32 v[4:5], v[166:167], v[4:5]
	v_pk_add_f32 v[28:29], v[246:247], v[28:29]
	ds_write2_b64 v40, v[4:5], v[28:29] offset0:42 offset1:49
	v_pk_fma_f32 v[28:29], v[182:183], s[26:27], v[222:223] neg_lo:[0,0,1] neg_hi:[0,0,1]
	v_pk_fma_f32 v[4:5], v[70:71], s[16:17], v[212:213] neg_lo:[0,0,1] neg_hi:[0,0,1]
	v_mov_b32_e32 v229, v29
	v_pk_fma_f32 v[28:29], v[188:189], s[18:19], v[226:227] neg_lo:[0,0,1] neg_hi:[0,0,1]
	v_mov_b32_e32 v219, v5
	;; [unrolled: 2-line block ×4, first 2 shown]
	v_pk_add_f32 v[4:5], v[132:133], v[218:219]
	v_mov_b32_e32 v237, v29
	v_pk_fma_f32 v[28:29], v[182:183], s[24:25], v[58:59] neg_lo:[0,0,1] neg_hi:[0,0,1]
	v_pk_add_f32 v[4:5], v[224:225], v[4:5]
	v_mov_b32_e32 v207, v29
	v_pk_fma_f32 v[28:29], v[188:189], s[22:23], v[204:205] neg_lo:[0,0,1] neg_hi:[0,0,1]
	v_pk_add_f32 v[4:5], v[228:229], v[4:5]
	v_pk_add_f32 v[6:7], v[206:207], v[6:7]
	v_mov_b32_e32 v211, v29
	v_pk_fma_f32 v[28:29], v[98:99], s[14:15], v[208:209] neg_lo:[0,0,1] neg_hi:[0,0,1]
	v_pk_add_f32 v[4:5], v[232:233], v[4:5]
	v_pk_add_f32 v[6:7], v[210:211], v[6:7]
	v_mov_b32_e32 v215, v29
	v_pk_add_f32 v[4:5], v[236:237], v[4:5]
	v_pk_add_f32 v[6:7], v[214:215], v[6:7]
	ds_write2_b64 v40, v[4:5], v[6:7] offset0:56 offset1:63
	v_pk_fma_f32 v[4:5], v[70:71], s[18:19], v[136:137] neg_lo:[0,0,1] neg_hi:[0,0,1]
	v_pk_fma_f32 v[6:7], v[182:183], s[16:17], v[186:187] neg_lo:[0,0,1] neg_hi:[0,0,1]
	v_mov_b32_e32 v79, v5
	v_pk_fma_f32 v[4:5], v[140:141], s[20:21], v[178:179] neg_lo:[0,0,1] neg_hi:[0,0,1]
	v_mov_b32_e32 v185, v7
	v_mov_b32_e32 v153, v5
	v_pk_add_f32 v[4:5], v[132:133], v[78:79]
	v_pk_fma_f32 v[6:7], v[188:189], s[12:13], v[190:191] neg_lo:[0,0,1] neg_hi:[0,0,1]
	v_pk_add_f32 v[4:5], v[152:153], v[4:5]
	v_mov_b32_e32 v75, v7
	v_pk_add_f32 v[4:5], v[184:185], v[4:5]
	v_pk_fma_f32 v[6:7], v[98:99], s[0:1], v[144:145] neg_lo:[0,0,1] neg_hi:[0,0,1]
	v_pk_add_f32 v[4:5], v[74:75], v[4:5]
	v_mov_b32_e32 v149, v7
	v_mov_b32_e32 v28, v115
	v_pk_add_f32 v[4:5], v[148:149], v[4:5]
	ds_write_b64 v40, v[4:5] offset:560
	v_pk_mul_f32 v[4:5], v[150:151], v[28:29] op_sel_hi:[1,0]
	v_mov_b32_e32 v32, v63
	v_pk_fma_f32 v[6:7], v[150:151], v[114:115], v[4:5] op_sel:[0,0,1] op_sel_hi:[1,1,0] neg_lo:[0,0,1] neg_hi:[0,0,1]
	v_pk_fma_f32 v[4:5], v[150:151], v[114:115], v[4:5] op_sel:[0,0,1] op_sel_hi:[1,0,0]
	v_mov_b32_e32 v78, v176
	v_mov_b32_e32 v7, v5
	v_pk_mul_f32 v[4:5], v[128:129], v[60:61] op_sel:[0,1]
	v_mov_b32_e32 v79, v174
	v_pk_fma_f32 v[28:29], v[128:129], v[60:61], v[4:5] op_sel:[0,0,1] op_sel_hi:[1,1,0] neg_lo:[0,0,1] neg_hi:[0,0,1]
	v_pk_fma_f32 v[4:5], v[128:129], v[60:61], v[4:5] op_sel:[0,0,1] op_sel_hi:[1,0,0]
	v_pk_add_f32 v[78:79], v[134:135], v[78:79]
	v_mov_b32_e32 v29, v5
	v_pk_mul_f32 v[4:5], v[154:155], v[32:33] op_sel_hi:[1,0]
	v_pk_add_f32 v[78:79], v[78:79], v[6:7]
	v_pk_fma_f32 v[32:33], v[154:155], v[62:63], v[4:5] op_sel:[0,0,1] op_sel_hi:[1,1,0] neg_lo:[0,0,1] neg_hi:[0,0,1]
	v_pk_fma_f32 v[4:5], v[154:155], v[62:63], v[4:5] op_sel:[0,0,1] op_sel_hi:[1,0,0]
	v_pk_add_f32 v[78:79], v[78:79], v[28:29]
	v_mov_b32_e32 v33, v5
	v_pk_mul_f32 v[4:5], v[80:81], v[92:93] op_sel:[0,1]
	v_pk_add_f32 v[78:79], v[78:79], v[32:33]
	v_pk_fma_f32 v[38:39], v[80:81], v[92:93], v[4:5] op_sel:[0,0,1] op_sel_hi:[1,1,0] neg_lo:[0,0,1] neg_hi:[0,0,1]
	v_pk_fma_f32 v[4:5], v[80:81], v[92:93], v[4:5] op_sel:[0,0,1] op_sel_hi:[1,0,0]
	s_waitcnt vmcnt(2)
	v_mov_b32_e32 v70, v127
	v_mov_b32_e32 v39, v5
	v_pk_mul_f32 v[4:5], v[146:147], v[42:43] op_sel_hi:[1,0]
	v_pk_add_f32 v[78:79], v[78:79], v[38:39]
	v_pk_fma_f32 v[52:53], v[146:147], v[94:95], v[4:5] op_sel:[0,0,1] op_sel_hi:[1,1,0] neg_lo:[0,0,1] neg_hi:[0,0,1]
	v_pk_fma_f32 v[4:5], v[146:147], v[94:95], v[4:5] op_sel:[0,0,1] op_sel_hi:[1,0,0]
	v_mov_b32_e32 v43, v174
	v_mov_b32_e32 v53, v5
	v_pk_mul_f32 v[4:5], v[100:101], v[116:117] op_sel:[0,1]
	v_pk_add_f32 v[78:79], v[78:79], v[52:53]
	v_pk_fma_f32 v[54:55], v[100:101], v[116:117], v[4:5] op_sel:[0,0,1] op_sel_hi:[1,1,0] neg_lo:[0,0,1] neg_hi:[0,0,1]
	v_pk_fma_f32 v[4:5], v[100:101], v[116:117], v[4:5] op_sel:[0,0,1] op_sel_hi:[1,0,0]
	v_accvgpr_read_b32 v40, a4
	v_mov_b32_e32 v55, v5
	v_pk_mul_f32 v[4:5], v[142:143], v[56:57] op_sel_hi:[1,0]
	v_pk_add_f32 v[78:79], v[78:79], v[54:55]
	v_pk_fma_f32 v[56:57], v[142:143], v[118:119], v[4:5] op_sel:[0,0,1] op_sel_hi:[1,1,0] neg_lo:[0,0,1] neg_hi:[0,0,1]
	v_pk_fma_f32 v[4:5], v[142:143], v[118:119], v[4:5] op_sel:[0,0,1] op_sel_hi:[1,0,0]
	v_mul_u32_u24_e32 v40, 0x4d, v40
	v_mov_b32_e32 v57, v5
	v_pk_mul_f32 v[4:5], v[84:85], v[124:125] op_sel:[0,1]
	v_pk_add_f32 v[78:79], v[78:79], v[56:57]
	v_pk_fma_f32 v[58:59], v[84:85], v[124:125], v[4:5] op_sel:[0,0,1] op_sel_hi:[1,1,0] neg_lo:[0,0,1] neg_hi:[0,0,1]
	v_pk_fma_f32 v[4:5], v[84:85], v[124:125], v[4:5] op_sel:[0,0,1] op_sel_hi:[1,0,0]
	v_add_lshl_u32 v37, v40, v37, 3
	v_mov_b32_e32 v59, v5
	v_pk_mul_f32 v[4:5], v[138:139], v[70:71] op_sel_hi:[1,0]
	v_pk_add_f32 v[78:79], v[78:79], v[58:59]
	v_pk_fma_f32 v[74:75], v[138:139], v[126:127], v[4:5] op_sel:[0,0,1] op_sel_hi:[1,0,0] neg_lo:[0,0,1] neg_hi:[0,0,1]
	v_pk_fma_f32 v[4:5], v[138:139], v[126:127], v[4:5] op_sel:[0,0,1] op_sel_hi:[1,0,0]
	v_mov_b32_e32 v70, v74
	v_mov_b32_e32 v71, v5
	v_pk_add_f32 v[138:139], v[78:79], v[70:71]
	v_pk_add_f32 v[140:141], v[176:177], v[74:75]
	;; [unrolled: 1-line block ×3, first 2 shown]
	v_pk_add_f32 v[74:75], v[176:177], v[74:75] neg_lo:[0,1] neg_hi:[0,1]
	v_mov_b32_e32 v4, v5
	v_pk_add_f32 v[4:5], v[174:175], v[4:5] neg_lo:[0,1] neg_hi:[0,1]
	v_pk_add_f32 v[142:143], v[6:7], v[58:59]
	v_pk_add_f32 v[6:7], v[6:7], v[58:59] neg_lo:[0,1] neg_hi:[0,1]
	v_mov_b32_e32 v141, v74
	v_pk_add_f32 v[58:59], v[28:29], v[56:57]
	v_pk_add_f32 v[28:29], v[28:29], v[56:57] neg_lo:[0,1] neg_hi:[0,1]
	v_mov_b32_e32 v70, v4
	v_pk_mul_f32 v[80:81], v[140:141], s[36:37]
	v_mov_b32_e32 v79, v143
	v_mov_b32_e32 v143, v6
	v_pk_add_f32 v[56:57], v[32:33], v[54:55]
	v_pk_add_f32 v[32:33], v[32:33], v[54:55] neg_lo:[0,1] neg_hi:[0,1]
	v_pk_add_f32 v[54:55], v[38:39], v[52:53]
	v_pk_add_f32 v[38:39], v[38:39], v[52:53] neg_lo:[0,1] neg_hi:[0,1]
	v_pk_fma_f32 v[52:53], v[4:5], s[18:19], v[80:81] neg_lo:[1,0,0] neg_hi:[1,0,0]
	v_pk_fma_f32 v[74:75], v[70:71], s[18:19], v[80:81]
	v_mov_b32_e32 v78, v7
	v_pk_mul_f32 v[100:101], v[142:143], s[38:39]
	v_mov_b32_e32 v99, v59
	v_mov_b32_e32 v59, v28
	;; [unrolled: 1-line block ×3, first 2 shown]
	v_pk_fma_f32 v[6:7], v[78:79], s[20:21], v[100:101] neg_lo:[1,0,0] neg_hi:[1,0,0]
	v_pk_fma_f32 v[84:85], v[78:79], s[20:21], v[100:101]
	v_mov_b32_e32 v98, v29
	v_pk_mul_f32 v[132:133], v[58:59], s[34:35]
	v_pk_add_f32 v[52:53], v[134:135], v[52:53]
	v_mov_b32_e32 v7, v85
	v_pk_fma_f32 v[28:29], v[98:99], s[16:17], v[132:133] neg_lo:[1,0,0] neg_hi:[1,0,0]
	v_pk_fma_f32 v[128:129], v[98:99], s[16:17], v[132:133]
	v_pk_add_f32 v[6:7], v[6:7], v[52:53]
	v_mov_b32_e32 v29, v129
	v_mov_b32_e32 v137, v57
	;; [unrolled: 1-line block ×3, first 2 shown]
	v_pk_add_f32 v[6:7], v[28:29], v[6:7]
	v_mov_b32_e32 v136, v33
	v_pk_mul_f32 v[28:29], v[56:57], s[30:31]
	v_pk_mul_f32 v[148:149], v[142:143], s[30:31]
	v_pk_fma_f32 v[32:33], v[136:137], s[12:13], v[28:29] neg_lo:[1,0,0] neg_hi:[1,0,0]
	v_pk_fma_f32 v[52:53], v[136:137], s[12:13], v[28:29]
	v_pk_fma_f32 v[150:151], v[78:79], s[12:13], v[148:149] neg_lo:[1,0,0] neg_hi:[1,0,0]
	v_mov_b32_e32 v33, v53
	v_pk_add_f32 v[6:7], v[32:33], v[6:7]
	v_mov_b32_e32 v33, v55
	v_mov_b32_e32 v55, v38
	;; [unrolled: 1-line block ×3, first 2 shown]
	v_pk_mul_f32 v[38:39], v[54:55], s[28:29]
	v_pk_fma_f32 v[152:153], v[78:79], s[12:13], v[148:149]
	v_pk_fma_f32 v[144:145], v[32:33], s[0:1], v[38:39] neg_lo:[1,0,0] neg_hi:[1,0,0]
	v_pk_fma_f32 v[146:147], v[32:33], s[0:1], v[38:39]
	v_mov_b32_e32 v151, v153
	v_mov_b32_e32 v145, v147
	v_pk_add_f32 v[6:7], v[144:145], v[6:7]
	ds_write2_b64 v37, v[138:139], v[6:7] offset1:7
	v_pk_mul_f32 v[6:7], v[140:141], s[38:39]
	v_pk_mul_f32 v[186:187], v[142:143], s[46:47]
	v_pk_fma_f32 v[138:139], v[4:5], s[20:21], v[6:7] neg_lo:[1,0,0] neg_hi:[1,0,0]
	v_pk_fma_f32 v[144:145], v[70:71], s[20:21], v[6:7]
	v_pk_fma_f32 v[188:189], v[78:79], s[24:25], v[186:187] neg_lo:[1,0,0] neg_hi:[1,0,0]
	v_mov_b32_e32 v139, v145
	v_pk_add_f32 v[138:139], v[134:135], v[138:139]
	v_pk_fma_f32 v[190:191], v[78:79], s[24:25], v[186:187]
	v_pk_add_f32 v[138:139], v[150:151], v[138:139]
	v_pk_mul_f32 v[150:151], v[58:59], s[46:47]
	v_mov_b32_e32 v189, v191
	v_pk_fma_f32 v[154:155], v[98:99], s[24:25], v[150:151] neg_lo:[1,0,0] neg_hi:[1,0,0]
	v_pk_fma_f32 v[156:157], v[98:99], s[24:25], v[150:151]
	v_pk_mul_f32 v[204:205], v[142:143], s[44:45]
	v_mov_b32_e32 v155, v157
	v_pk_add_f32 v[138:139], v[154:155], v[138:139]
	v_pk_mul_f32 v[154:155], v[56:57], s[44:45]
	v_pk_fma_f32 v[206:207], v[78:79], s[22:23], v[204:205] neg_lo:[1,0,0] neg_hi:[1,0,0]
	v_pk_fma_f32 v[166:167], v[136:137], s[22:23], v[154:155] neg_lo:[1,0,0] neg_hi:[1,0,0]
	v_pk_fma_f32 v[174:175], v[136:137], s[22:23], v[154:155]
	v_pk_fma_f32 v[208:209], v[78:79], s[22:23], v[204:205]
	v_mov_b32_e32 v167, v175
	v_pk_add_f32 v[138:139], v[166:167], v[138:139]
	v_pk_mul_f32 v[166:167], v[54:55], s[40:41]
	v_mov_b32_e32 v207, v209
	v_pk_fma_f32 v[176:177], v[32:33], s[14:15], v[166:167] neg_lo:[1,0,0] neg_hi:[1,0,0]
	v_pk_fma_f32 v[178:179], v[32:33], s[14:15], v[166:167]
	v_pk_mul_f32 v[142:143], v[142:143], s[40:41]
	v_mov_b32_e32 v177, v179
	v_pk_add_f32 v[138:139], v[176:177], v[138:139]
	v_pk_mul_f32 v[176:177], v[140:141], s[34:35]
	v_pk_fma_f32 v[222:223], v[78:79], s[14:15], v[142:143] neg_lo:[1,0,0] neg_hi:[1,0,0]
	v_pk_fma_f32 v[182:183], v[4:5], s[16:17], v[176:177] neg_lo:[1,0,0] neg_hi:[1,0,0]
	v_pk_fma_f32 v[184:185], v[70:71], s[16:17], v[176:177]
	v_pk_fma_f32 v[224:225], v[78:79], s[14:15], v[142:143]
	v_mov_b32_e32 v183, v185
	v_pk_add_f32 v[182:183], v[134:135], v[182:183]
	v_mov_b32_e32 v223, v225
	v_pk_add_f32 v[182:183], v[188:189], v[182:183]
	v_pk_mul_f32 v[188:189], v[58:59], s[42:43]
	v_pk_fma_f32 v[6:7], v[70:71], s[20:21], v[6:7] neg_lo:[0,0,1] neg_hi:[0,0,1]
	v_pk_fma_f32 v[192:193], v[98:99], s[26:27], v[188:189] neg_lo:[1,0,0] neg_hi:[1,0,0]
	v_pk_fma_f32 v[194:195], v[98:99], s[26:27], v[188:189]
	v_mov_b32_e32 v145, v7
	v_mov_b32_e32 v193, v195
	v_pk_add_f32 v[182:183], v[192:193], v[182:183]
	v_pk_mul_f32 v[192:193], v[56:57], s[36:37]
	v_pk_fma_f32 v[6:7], v[78:79], s[12:13], v[148:149] neg_lo:[0,0,1] neg_hi:[0,0,1]
	v_pk_fma_f32 v[196:197], v[136:137], s[18:19], v[192:193] neg_lo:[1,0,0] neg_hi:[1,0,0]
	v_pk_fma_f32 v[198:199], v[136:137], s[18:19], v[192:193]
	v_mov_b32_e32 v153, v7
	v_mov_b32_e32 v197, v199
	v_pk_add_f32 v[182:183], v[196:197], v[182:183]
	v_pk_mul_f32 v[196:197], v[54:55], s[30:31]
	v_pk_add_f32 v[6:7], v[134:135], v[144:145]
	v_pk_fma_f32 v[200:201], v[32:33], s[12:13], v[196:197] neg_lo:[1,0,0] neg_hi:[1,0,0]
	v_pk_fma_f32 v[202:203], v[32:33], s[12:13], v[196:197]
	v_pk_add_f32 v[6:7], v[152:153], v[6:7]
	v_mov_b32_e32 v201, v203
	v_pk_add_f32 v[182:183], v[200:201], v[182:183]
	ds_write2_b64 v37, v[138:139], v[182:183] offset0:14 offset1:21
	v_pk_mul_f32 v[138:139], v[140:141], s[30:31]
	v_pk_mul_f32 v[140:141], v[140:141], s[28:29]
	v_pk_fma_f32 v[182:183], v[4:5], s[12:13], v[138:139] neg_lo:[1,0,0] neg_hi:[1,0,0]
	v_pk_fma_f32 v[200:201], v[70:71], s[12:13], v[138:139]
	v_pk_fma_f32 v[4:5], v[4:5], s[0:1], v[140:141] neg_lo:[1,0,0] neg_hi:[1,0,0]
	v_mov_b32_e32 v183, v201
	v_pk_add_f32 v[182:183], v[134:135], v[182:183]
	v_mov_b32_e32 v40, v47
	v_pk_add_f32 v[182:183], v[206:207], v[182:183]
	v_pk_mul_f32 v[206:207], v[58:59], s[36:37]
	v_pk_mul_f32 v[58:59], v[58:59], s[30:31]
	v_pk_fma_f32 v[210:211], v[98:99], s[18:19], v[206:207] neg_lo:[1,0,0] neg_hi:[1,0,0]
	v_pk_fma_f32 v[212:213], v[98:99], s[18:19], v[206:207]
	v_pk_fma_f32 v[226:227], v[98:99], s[12:13], v[58:59]
	v_mov_b32_e32 v211, v213
	v_pk_add_f32 v[182:183], v[210:211], v[182:183]
	v_pk_mul_f32 v[210:211], v[56:57], s[28:29]
	v_pk_mul_f32 v[56:57], v[56:57], s[42:43]
	v_pk_fma_f32 v[214:215], v[136:137], s[0:1], v[210:211] neg_lo:[1,0,0] neg_hi:[1,0,0]
	v_pk_fma_f32 v[216:217], v[136:137], s[0:1], v[210:211]
	v_pk_fma_f32 v[228:229], v[136:137], s[26:27], v[56:57]
	;; [unrolled: 7-line block ×3, first 2 shown]
	v_mov_b32_e32 v219, v221
	v_pk_add_f32 v[182:183], v[218:219], v[182:183]
	v_pk_fma_f32 v[218:219], v[70:71], s[0:1], v[140:141]
	v_accvgpr_write_b32 a129, v37
	v_mov_b32_e32 v5, v219
	v_pk_add_f32 v[4:5], v[134:135], v[4:5]
	v_mov_b32_e32 v42, v15
	v_pk_add_f32 v[4:5], v[222:223], v[4:5]
	v_pk_fma_f32 v[222:223], v[98:99], s[12:13], v[58:59] neg_lo:[1,0,0] neg_hi:[1,0,0]
	v_pk_fma_f32 v[58:59], v[98:99], s[12:13], v[58:59] neg_lo:[0,0,1] neg_hi:[0,0,1]
	v_mov_b32_e32 v223, v227
	v_pk_add_f32 v[4:5], v[222:223], v[4:5]
	v_pk_fma_f32 v[222:223], v[136:137], s[26:27], v[56:57] neg_lo:[1,0,0] neg_hi:[1,0,0]
	v_pk_fma_f32 v[56:57], v[136:137], s[26:27], v[56:57] neg_lo:[0,0,1] neg_hi:[0,0,1]
	v_mov_b32_e32 v223, v229
	v_pk_add_f32 v[4:5], v[222:223], v[4:5]
	v_pk_fma_f32 v[222:223], v[32:33], s[16:17], v[54:55] neg_lo:[1,0,0] neg_hi:[1,0,0]
	v_pk_fma_f32 v[54:55], v[32:33], s[16:17], v[54:55] neg_lo:[0,0,1] neg_hi:[0,0,1]
	v_mov_b32_e32 v223, v231
	v_pk_add_f32 v[4:5], v[222:223], v[4:5]
	ds_write2_b64 v37, v[182:183], v[4:5] offset0:28 offset1:35
	v_pk_fma_f32 v[4:5], v[70:71], s[0:1], v[140:141] neg_lo:[0,0,1] neg_hi:[0,0,1]
	v_mov_b32_e32 v231, v55
	v_pk_fma_f32 v[54:55], v[70:71], s[12:13], v[138:139] neg_lo:[0,0,1] neg_hi:[0,0,1]
	v_mov_b32_e32 v219, v5
	v_pk_fma_f32 v[4:5], v[78:79], s[14:15], v[142:143] neg_lo:[0,0,1] neg_hi:[0,0,1]
	v_mov_b32_e32 v201, v55
	v_pk_fma_f32 v[54:55], v[78:79], s[22:23], v[204:205] neg_lo:[0,0,1] neg_hi:[0,0,1]
	v_mov_b32_e32 v225, v5
	v_pk_add_f32 v[4:5], v[134:135], v[218:219]
	v_mov_b32_e32 v229, v57
	v_mov_b32_e32 v209, v55
	v_pk_add_f32 v[54:55], v[134:135], v[200:201]
	v_pk_fma_f32 v[56:57], v[98:99], s[18:19], v[206:207] neg_lo:[0,0,1] neg_hi:[0,0,1]
	v_pk_add_f32 v[4:5], v[224:225], v[4:5]
	v_mov_b32_e32 v227, v59
	v_pk_add_f32 v[54:55], v[208:209], v[54:55]
	v_mov_b32_e32 v213, v57
	v_pk_fma_f32 v[56:57], v[136:137], s[0:1], v[210:211] neg_lo:[0,0,1] neg_hi:[0,0,1]
	v_pk_add_f32 v[4:5], v[226:227], v[4:5]
	v_pk_add_f32 v[54:55], v[212:213], v[54:55]
	v_mov_b32_e32 v217, v57
	v_pk_fma_f32 v[56:57], v[32:33], s[26:27], v[214:215] neg_lo:[0,0,1] neg_hi:[0,0,1]
	v_pk_add_f32 v[4:5], v[228:229], v[4:5]
	v_pk_add_f32 v[54:55], v[216:217], v[54:55]
	v_mov_b32_e32 v221, v57
	v_pk_add_f32 v[4:5], v[230:231], v[4:5]
	v_pk_add_f32 v[54:55], v[220:221], v[54:55]
	ds_write2_b64 v37, v[4:5], v[54:55] offset0:42 offset1:49
	v_pk_fma_f32 v[54:55], v[98:99], s[26:27], v[188:189] neg_lo:[0,0,1] neg_hi:[0,0,1]
	v_pk_fma_f32 v[4:5], v[70:71], s[16:17], v[176:177] neg_lo:[0,0,1] neg_hi:[0,0,1]
	v_mov_b32_e32 v195, v55
	v_pk_fma_f32 v[54:55], v[136:137], s[18:19], v[192:193] neg_lo:[0,0,1] neg_hi:[0,0,1]
	v_mov_b32_e32 v185, v5
	;; [unrolled: 2-line block ×4, first 2 shown]
	v_pk_add_f32 v[4:5], v[134:135], v[184:185]
	v_mov_b32_e32 v203, v55
	v_pk_fma_f32 v[54:55], v[98:99], s[24:25], v[150:151] neg_lo:[0,0,1] neg_hi:[0,0,1]
	v_pk_add_f32 v[4:5], v[190:191], v[4:5]
	v_mov_b32_e32 v157, v55
	v_pk_fma_f32 v[54:55], v[136:137], s[22:23], v[154:155] neg_lo:[0,0,1] neg_hi:[0,0,1]
	v_pk_add_f32 v[4:5], v[194:195], v[4:5]
	v_pk_add_f32 v[6:7], v[156:157], v[6:7]
	v_mov_b32_e32 v175, v55
	v_pk_fma_f32 v[54:55], v[32:33], s[14:15], v[166:167] neg_lo:[0,0,1] neg_hi:[0,0,1]
	v_pk_add_f32 v[4:5], v[198:199], v[4:5]
	v_pk_add_f32 v[6:7], v[174:175], v[6:7]
	v_mov_b32_e32 v179, v55
	v_pk_add_f32 v[4:5], v[202:203], v[4:5]
	v_pk_add_f32 v[6:7], v[178:179], v[6:7]
	ds_write2_b64 v37, v[4:5], v[6:7] offset0:56 offset1:63
	v_pk_fma_f32 v[4:5], v[70:71], s[18:19], v[80:81] neg_lo:[0,0,1] neg_hi:[0,0,1]
	v_pk_fma_f32 v[6:7], v[78:79], s[20:21], v[100:101] neg_lo:[0,0,1] neg_hi:[0,0,1]
	v_mov_b32_e32 v75, v5
	v_pk_add_f32 v[4:5], v[134:135], v[74:75]
	v_mov_b32_e32 v85, v7
	v_pk_fma_f32 v[6:7], v[98:99], s[16:17], v[132:133] neg_lo:[0,0,1] neg_hi:[0,0,1]
	v_pk_add_f32 v[4:5], v[84:85], v[4:5]
	v_mov_b32_e32 v129, v7
	v_pk_fma_f32 v[6:7], v[136:137], s[12:13], v[28:29] neg_lo:[0,0,1] neg_hi:[0,0,1]
	;; [unrolled: 3-line block ×3, first 2 shown]
	v_pk_add_f32 v[4:5], v[52:53], v[4:5]
	v_mov_b32_e32 v147, v7
	v_pk_add_f32 v[4:5], v[146:147], v[4:5]
	ds_write_b64 v37, v[4:5] offset:560
	v_accvgpr_read_b32 v4, a0
	v_mul_u32_u24_e32 v4, 0x4d, v4
	v_accvgpr_read_b32 v5, a1
	v_add_lshl_u32 v37, v4, v5, 3
	v_pk_mul_f32 v[4:5], v[96:97], v[40:41] op_sel_hi:[1,0]
	s_waitcnt vmcnt(0)
	v_mov_b32_e32 v54, v107
	v_pk_fma_f32 v[6:7], v[96:97], v[46:47], v[4:5] op_sel:[0,0,1] op_sel_hi:[1,1,0] neg_lo:[0,0,1] neg_hi:[0,0,1]
	v_pk_fma_f32 v[4:5], v[96:97], v[46:47], v[4:5] op_sel:[0,0,1] op_sel_hi:[1,0,0]
	v_mov_b32_e32 v56, v123
	v_mov_b32_e32 v7, v5
	v_pk_mul_f32 v[4:5], v[130:131], v[12:13] op_sel:[0,1]
	v_mov_b32_e32 v70, v25
	v_pk_fma_f32 v[28:29], v[130:131], v[12:13], v[4:5] op_sel:[0,0,1] op_sel_hi:[1,1,0] neg_lo:[0,0,1] neg_hi:[0,0,1]
	v_pk_fma_f32 v[4:5], v[130:131], v[12:13], v[4:5] op_sel:[0,0,1] op_sel_hi:[1,0,0]
	v_accvgpr_read_b32 v41, a9
	v_mov_b32_e32 v29, v5
	v_pk_mul_f32 v[4:5], v[76:77], v[42:43] op_sel_hi:[1,0]
	v_accvgpr_read_b32 v40, a8
	v_pk_fma_f32 v[32:33], v[76:77], v[14:15], v[4:5] op_sel:[0,0,1] op_sel_hi:[1,1,0] neg_lo:[0,0,1] neg_hi:[0,0,1]
	v_pk_fma_f32 v[4:5], v[76:77], v[14:15], v[4:5] op_sel:[0,0,1] op_sel_hi:[1,0,0]
	v_accvgpr_read_b32 v43, a11
	v_mov_b32_e32 v33, v5
	v_pk_mul_f32 v[4:5], v[82:83], v[104:105] op_sel:[0,1]
	v_accvgpr_write_b32 a149, v45
	v_pk_fma_f32 v[38:39], v[82:83], v[104:105], v[4:5] op_sel:[0,0,1] op_sel_hi:[1,1,0] neg_lo:[0,0,1] neg_hi:[0,0,1]
	v_pk_fma_f32 v[4:5], v[82:83], v[104:105], v[4:5] op_sel:[0,0,1] op_sel_hi:[1,0,0]
	v_accvgpr_write_b32 a148, v44
	v_mov_b32_e32 v39, v5
	v_pk_mul_f32 v[4:5], v[72:73], v[54:55] op_sel_hi:[1,0]
	v_accvgpr_read_b32 v45, a13
	v_pk_fma_f32 v[52:53], v[72:73], v[106:107], v[4:5] op_sel:[0,0,1] op_sel_hi:[1,1,0] neg_lo:[0,0,1] neg_hi:[0,0,1]
	v_pk_fma_f32 v[4:5], v[72:73], v[106:107], v[4:5] op_sel:[0,0,1] op_sel_hi:[1,0,0]
	v_accvgpr_read_b32 v42, a10
	v_mov_b32_e32 v53, v5
	v_pk_mul_f32 v[4:5], v[102:103], v[120:121] op_sel:[0,1]
	v_accvgpr_write_b32 a240, v47
	v_pk_fma_f32 v[54:55], v[102:103], v[120:121], v[4:5] op_sel:[0,0,1] op_sel_hi:[1,1,0] neg_lo:[0,0,1] neg_hi:[0,0,1]
	v_pk_fma_f32 v[4:5], v[102:103], v[120:121], v[4:5] op_sel:[0,0,1] op_sel_hi:[1,0,0]
	v_accvgpr_read_b32 v44, a12
	v_mov_b32_e32 v55, v5
	v_pk_mul_f32 v[4:5], v[68:69], v[56:57] op_sel_hi:[1,0]
	v_accvgpr_read_b32 v47, a17
	v_pk_fma_f32 v[56:57], v[68:69], v[122:123], v[4:5] op_sel:[0,0,1] op_sel_hi:[1,1,0] neg_lo:[0,0,1] neg_hi:[0,0,1]
	v_pk_fma_f32 v[4:5], v[68:69], v[122:123], v[4:5] op_sel:[0,0,1] op_sel_hi:[1,0,0]
	v_accvgpr_read_b32 v46, a16
	v_mov_b32_e32 v57, v5
	v_pk_mul_f32 v[4:5], v[86:87], v[22:23] op_sel:[0,1]
	v_accvgpr_write_b32 a194, v63
	v_pk_fma_f32 v[58:59], v[86:87], v[22:23], v[4:5] op_sel:[0,0,1] op_sel_hi:[1,1,0] neg_lo:[0,0,1] neg_hi:[0,0,1]
	v_pk_fma_f32 v[4:5], v[86:87], v[22:23], v[4:5] op_sel:[0,0,1] op_sel_hi:[1,0,0]
	v_accvgpr_write_b32 a206, v95
	v_mov_b32_e32 v59, v5
	v_pk_mul_f32 v[4:5], v[8:9], v[70:71] op_sel_hi:[1,0]
	v_mov_b32_e32 v70, v172
	v_mov_b32_e32 v71, v170
	v_pk_add_f32 v[70:71], v[64:65], v[70:71]
	v_pk_fma_f32 v[68:69], v[8:9], v[24:25], v[4:5] op_sel:[0,0,1] op_sel_hi:[1,0,0] neg_lo:[0,0,1] neg_hi:[0,0,1]
	v_pk_add_f32 v[70:71], v[70:71], v[6:7]
	v_pk_fma_f32 v[4:5], v[8:9], v[24:25], v[4:5] op_sel:[0,0,1] op_sel_hi:[1,0,0]
	v_pk_add_f32 v[70:71], v[70:71], v[28:29]
	v_mov_b32_e32 v8, v68
	v_pk_add_f32 v[70:71], v[70:71], v[32:33]
	v_mov_b32_e32 v9, v5
	v_pk_add_f32 v[70:71], v[70:71], v[38:39]
	v_pk_add_f32 v[130:131], v[172:173], v[68:69]
	;; [unrolled: 1-line block ×3, first 2 shown]
	v_pk_add_f32 v[68:69], v[172:173], v[68:69] neg_lo:[0,1] neg_hi:[0,1]
	v_pk_add_f32 v[70:71], v[70:71], v[54:55]
	v_pk_add_f32 v[132:133], v[6:7], v[58:59]
	;; [unrolled: 1-line block ×3, first 2 shown]
	v_pk_add_f32 v[6:7], v[6:7], v[58:59] neg_lo:[0,1] neg_hi:[0,1]
	v_pk_add_f32 v[70:71], v[70:71], v[58:59]
	v_mov_b32_e32 v131, v68
	v_pk_add_f32 v[128:129], v[70:71], v[8:9]
	v_mov_b32_e32 v9, v170
	;; [unrolled: 2-line block ×3, first 2 shown]
	v_pk_add_f32 v[4:5], v[170:171], v[4:5] neg_lo:[0,1] neg_hi:[0,1]
	v_pk_add_f32 v[58:59], v[28:29], v[56:57]
	v_pk_add_f32 v[28:29], v[28:29], v[56:57] neg_lo:[0,1] neg_hi:[0,1]
	v_mov_b32_e32 v8, v4
	v_pk_mul_f32 v[70:71], v[130:131], s[36:37]
	v_mov_b32_e32 v73, v133
	v_mov_b32_e32 v133, v6
	v_pk_add_f32 v[56:57], v[32:33], v[54:55]
	v_pk_add_f32 v[32:33], v[32:33], v[54:55] neg_lo:[0,1] neg_hi:[0,1]
	v_pk_add_f32 v[54:55], v[38:39], v[52:53]
	v_pk_add_f32 v[38:39], v[38:39], v[52:53] neg_lo:[0,1] neg_hi:[0,1]
	v_pk_fma_f32 v[52:53], v[4:5], s[18:19], v[70:71] neg_lo:[1,0,0] neg_hi:[1,0,0]
	v_pk_fma_f32 v[68:69], v[8:9], s[18:19], v[70:71]
	v_mov_b32_e32 v72, v7
	v_pk_mul_f32 v[76:77], v[132:133], s[38:39]
	v_mov_b32_e32 v79, v59
	v_mov_b32_e32 v59, v28
	;; [unrolled: 1-line block ×3, first 2 shown]
	v_pk_fma_f32 v[6:7], v[72:73], s[20:21], v[76:77] neg_lo:[1,0,0] neg_hi:[1,0,0]
	v_pk_fma_f32 v[74:75], v[72:73], s[20:21], v[76:77]
	v_mov_b32_e32 v78, v29
	v_pk_mul_f32 v[82:83], v[58:59], s[34:35]
	v_pk_add_f32 v[52:53], v[64:65], v[52:53]
	v_mov_b32_e32 v7, v75
	v_pk_fma_f32 v[28:29], v[78:79], s[16:17], v[82:83] neg_lo:[1,0,0] neg_hi:[1,0,0]
	v_pk_fma_f32 v[80:81], v[78:79], s[16:17], v[82:83]
	v_mov_b32_e32 v85, v57
	v_mov_b32_e32 v57, v32
	v_pk_add_f32 v[6:7], v[6:7], v[52:53]
	v_mov_b32_e32 v29, v81
	v_mov_b32_e32 v84, v33
	v_pk_mul_f32 v[96:97], v[56:57], s[30:31]
	v_pk_add_f32 v[6:7], v[28:29], v[6:7]
	v_pk_fma_f32 v[28:29], v[84:85], s[12:13], v[96:97] neg_lo:[1,0,0] neg_hi:[1,0,0]
	v_pk_fma_f32 v[86:87], v[84:85], s[12:13], v[96:97]
	v_mov_b32_e32 v99, v55
	v_mov_b32_e32 v55, v38
	;; [unrolled: 1-line block ×4, first 2 shown]
	v_pk_mul_f32 v[102:103], v[54:55], s[28:29]
	v_pk_add_f32 v[6:7], v[28:29], v[6:7]
	v_pk_fma_f32 v[28:29], v[98:99], s[0:1], v[102:103] neg_lo:[1,0,0] neg_hi:[1,0,0]
	v_pk_fma_f32 v[100:101], v[98:99], s[0:1], v[102:103]
	v_pk_mul_f32 v[38:39], v[132:133], s[30:31]
	v_mov_b32_e32 v29, v101
	v_pk_add_f32 v[6:7], v[28:29], v[6:7]
	ds_write2_b64 v37, v[128:129], v[6:7] offset1:7
	v_pk_mul_f32 v[6:7], v[130:131], s[38:39]
	v_pk_fma_f32 v[52:53], v[72:73], s[12:13], v[38:39] neg_lo:[1,0,0] neg_hi:[1,0,0]
	v_pk_fma_f32 v[28:29], v[4:5], s[20:21], v[6:7] neg_lo:[1,0,0] neg_hi:[1,0,0]
	v_pk_fma_f32 v[32:33], v[8:9], s[20:21], v[6:7]
	v_pk_fma_f32 v[128:129], v[72:73], s[12:13], v[38:39]
	v_mov_b32_e32 v29, v33
	v_pk_add_f32 v[28:29], v[64:65], v[28:29]
	v_mov_b32_e32 v53, v129
	v_pk_add_f32 v[28:29], v[52:53], v[28:29]
	v_pk_mul_f32 v[52:53], v[58:59], s[46:47]
	v_pk_mul_f32 v[150:151], v[132:133], s[46:47]
	v_pk_fma_f32 v[134:135], v[78:79], s[24:25], v[52:53] neg_lo:[1,0,0] neg_hi:[1,0,0]
	v_pk_fma_f32 v[136:137], v[78:79], s[24:25], v[52:53]
	v_pk_fma_f32 v[152:153], v[72:73], s[24:25], v[150:151] neg_lo:[1,0,0] neg_hi:[1,0,0]
	v_mov_b32_e32 v135, v137
	v_pk_add_f32 v[28:29], v[134:135], v[28:29]
	v_pk_mul_f32 v[134:135], v[56:57], s[44:45]
	v_pk_fma_f32 v[154:155], v[72:73], s[24:25], v[150:151]
	v_pk_fma_f32 v[138:139], v[84:85], s[22:23], v[134:135] neg_lo:[1,0,0] neg_hi:[1,0,0]
	v_pk_fma_f32 v[140:141], v[84:85], s[22:23], v[134:135]
	v_mov_b32_e32 v153, v155
	v_mov_b32_e32 v139, v141
	v_pk_add_f32 v[28:29], v[138:139], v[28:29]
	v_pk_mul_f32 v[138:139], v[54:55], s[40:41]
	v_pk_mul_f32 v[178:179], v[132:133], s[44:45]
	v_pk_fma_f32 v[142:143], v[98:99], s[14:15], v[138:139] neg_lo:[1,0,0] neg_hi:[1,0,0]
	v_pk_fma_f32 v[144:145], v[98:99], s[14:15], v[138:139]
	v_pk_fma_f32 v[182:183], v[72:73], s[22:23], v[178:179] neg_lo:[1,0,0] neg_hi:[1,0,0]
	v_mov_b32_e32 v143, v145
	v_pk_add_f32 v[28:29], v[142:143], v[28:29]
	v_pk_mul_f32 v[142:143], v[130:131], s[34:35]
	v_pk_fma_f32 v[184:185], v[72:73], s[22:23], v[178:179]
	v_pk_fma_f32 v[146:147], v[4:5], s[16:17], v[142:143] neg_lo:[1,0,0] neg_hi:[1,0,0]
	v_pk_fma_f32 v[148:149], v[8:9], s[16:17], v[142:143]
	v_mov_b32_e32 v183, v185
	v_mov_b32_e32 v147, v149
	v_pk_add_f32 v[146:147], v[64:65], v[146:147]
	v_pk_mul_f32 v[132:133], v[132:133], s[40:41]
	v_pk_add_f32 v[146:147], v[152:153], v[146:147]
	v_pk_mul_f32 v[152:153], v[58:59], s[42:43]
	v_pk_fma_f32 v[198:199], v[72:73], s[14:15], v[132:133] neg_lo:[1,0,0] neg_hi:[1,0,0]
	v_pk_fma_f32 v[156:157], v[78:79], s[26:27], v[152:153] neg_lo:[1,0,0] neg_hi:[1,0,0]
	v_pk_fma_f32 v[166:167], v[78:79], s[26:27], v[152:153]
	v_pk_fma_f32 v[200:201], v[72:73], s[14:15], v[132:133]
	v_mov_b32_e32 v157, v167
	v_pk_add_f32 v[146:147], v[156:157], v[146:147]
	v_pk_mul_f32 v[156:157], v[56:57], s[36:37]
	v_mov_b32_e32 v199, v201
	v_pk_fma_f32 v[170:171], v[84:85], s[18:19], v[156:157] neg_lo:[1,0,0] neg_hi:[1,0,0]
	v_pk_fma_f32 v[172:173], v[84:85], s[18:19], v[156:157]
	v_pk_fma_f32 v[6:7], v[8:9], s[20:21], v[6:7] neg_lo:[0,0,1] neg_hi:[0,0,1]
	v_mov_b32_e32 v171, v173
	v_pk_add_f32 v[146:147], v[170:171], v[146:147]
	v_pk_mul_f32 v[170:171], v[54:55], s[30:31]
	v_mov_b32_e32 v33, v7
	v_pk_fma_f32 v[174:175], v[98:99], s[12:13], v[170:171] neg_lo:[1,0,0] neg_hi:[1,0,0]
	v_pk_fma_f32 v[176:177], v[98:99], s[12:13], v[170:171]
	v_pk_fma_f32 v[6:7], v[72:73], s[12:13], v[38:39] neg_lo:[0,0,1] neg_hi:[0,0,1]
	v_mov_b32_e32 v175, v177
	v_pk_add_f32 v[146:147], v[174:175], v[146:147]
	ds_write2_b64 v37, v[28:29], v[146:147] offset0:14 offset1:21
	v_pk_mul_f32 v[28:29], v[130:131], s[30:31]
	v_pk_mul_f32 v[130:131], v[130:131], s[28:29]
	v_pk_fma_f32 v[146:147], v[4:5], s[12:13], v[28:29] neg_lo:[1,0,0] neg_hi:[1,0,0]
	v_pk_fma_f32 v[174:175], v[8:9], s[12:13], v[28:29]
	v_pk_fma_f32 v[4:5], v[4:5], s[0:1], v[130:131] neg_lo:[1,0,0] neg_hi:[1,0,0]
	v_mov_b32_e32 v147, v175
	v_pk_add_f32 v[146:147], v[64:65], v[146:147]
	v_pk_fma_f32 v[28:29], v[8:9], s[12:13], v[28:29] neg_lo:[0,0,1] neg_hi:[0,0,1]
	v_pk_add_f32 v[146:147], v[182:183], v[146:147]
	v_pk_mul_f32 v[182:183], v[58:59], s[36:37]
	v_pk_mul_f32 v[58:59], v[58:59], s[30:31]
	v_pk_fma_f32 v[186:187], v[78:79], s[18:19], v[182:183] neg_lo:[1,0,0] neg_hi:[1,0,0]
	v_pk_fma_f32 v[188:189], v[78:79], s[18:19], v[182:183]
	v_pk_fma_f32 v[202:203], v[78:79], s[12:13], v[58:59]
	v_mov_b32_e32 v187, v189
	v_pk_add_f32 v[146:147], v[186:187], v[146:147]
	v_pk_mul_f32 v[186:187], v[56:57], s[28:29]
	v_pk_mul_f32 v[56:57], v[56:57], s[42:43]
	v_pk_fma_f32 v[190:191], v[84:85], s[0:1], v[186:187] neg_lo:[1,0,0] neg_hi:[1,0,0]
	v_pk_fma_f32 v[192:193], v[84:85], s[0:1], v[186:187]
	v_pk_fma_f32 v[204:205], v[84:85], s[26:27], v[56:57]
	v_mov_b32_e32 v191, v193
	;; [unrolled: 7-line block ×3, first 2 shown]
	v_pk_add_f32 v[146:147], v[194:195], v[146:147]
	v_pk_fma_f32 v[194:195], v[8:9], s[0:1], v[130:131]
	v_mov_b32_e32 v175, v29
	v_mov_b32_e32 v5, v195
	v_pk_add_f32 v[4:5], v[64:65], v[4:5]
	v_pk_fma_f32 v[28:29], v[72:73], s[22:23], v[178:179] neg_lo:[0,0,1] neg_hi:[0,0,1]
	v_pk_add_f32 v[4:5], v[198:199], v[4:5]
	v_pk_fma_f32 v[198:199], v[78:79], s[12:13], v[58:59] neg_lo:[1,0,0] neg_hi:[1,0,0]
	v_pk_fma_f32 v[58:59], v[78:79], s[12:13], v[58:59] neg_lo:[0,0,1] neg_hi:[0,0,1]
	v_mov_b32_e32 v199, v203
	v_pk_add_f32 v[4:5], v[198:199], v[4:5]
	v_pk_fma_f32 v[198:199], v[84:85], s[26:27], v[56:57] neg_lo:[1,0,0] neg_hi:[1,0,0]
	v_mov_b32_e32 v185, v29
	v_mov_b32_e32 v199, v205
	v_pk_add_f32 v[4:5], v[198:199], v[4:5]
	v_pk_fma_f32 v[198:199], v[98:99], s[16:17], v[54:55] neg_lo:[1,0,0] neg_hi:[1,0,0]
	v_pk_fma_f32 v[54:55], v[98:99], s[16:17], v[54:55] neg_lo:[0,0,1] neg_hi:[0,0,1]
	v_mov_b32_e32 v199, v207
	v_pk_add_f32 v[4:5], v[198:199], v[4:5]
	ds_write2_b64 v37, v[146:147], v[4:5] offset0:28 offset1:35
	v_pk_fma_f32 v[4:5], v[8:9], s[0:1], v[130:131] neg_lo:[0,0,1] neg_hi:[0,0,1]
	v_mov_b32_e32 v207, v55
	v_mov_b32_e32 v195, v5
	v_pk_fma_f32 v[4:5], v[72:73], s[14:15], v[132:133] neg_lo:[0,0,1] neg_hi:[0,0,1]
	v_pk_add_f32 v[28:29], v[64:65], v[174:175]
	v_mov_b32_e32 v201, v5
	v_pk_add_f32 v[4:5], v[64:65], v[194:195]
	v_pk_fma_f32 v[54:55], v[78:79], s[18:19], v[182:183] neg_lo:[0,0,1] neg_hi:[0,0,1]
	v_pk_add_f32 v[4:5], v[200:201], v[4:5]
	v_mov_b32_e32 v203, v59
	v_pk_fma_f32 v[56:57], v[84:85], s[26:27], v[56:57] neg_lo:[0,0,1] neg_hi:[0,0,1]
	v_pk_add_f32 v[28:29], v[184:185], v[28:29]
	v_mov_b32_e32 v189, v55
	;; [unrolled: 3-line block ×3, first 2 shown]
	v_pk_add_f32 v[28:29], v[188:189], v[28:29]
	v_mov_b32_e32 v193, v55
	v_pk_fma_f32 v[54:55], v[98:99], s[26:27], v[190:191] neg_lo:[0,0,1] neg_hi:[0,0,1]
	v_pk_add_f32 v[4:5], v[204:205], v[4:5]
	v_pk_add_f32 v[28:29], v[192:193], v[28:29]
	v_mov_b32_e32 v197, v55
	v_pk_add_f32 v[4:5], v[206:207], v[4:5]
	v_pk_add_f32 v[28:29], v[196:197], v[28:29]
	ds_write2_b64 v37, v[4:5], v[28:29] offset0:42 offset1:49
	v_mov_b32_e32 v4, v40
	v_mov_b32_e32 v5, v31
	v_pk_add_f32 v[4:5], v[10:11], v[4:5]
	v_mov_b32_e32 v28, v42
	v_mov_b32_e32 v29, v35
	v_accvgpr_read_b32 v55, a7
	v_pk_add_f32 v[4:5], v[28:29], v[4:5]
	v_mov_b32_e32 v28, v44
	v_mov_b32_e32 v29, v67
	v_accvgpr_read_b32 v54, a6
	v_pk_add_f32 v[4:5], v[28:29], v[4:5]
	v_mov_b32_e32 v28, v46
	v_mov_b32_e32 v29, v159
	v_pk_add_f32 v[4:5], v[28:29], v[4:5]
	v_mov_b32_e32 v28, v54
	v_mov_b32_e32 v29, v169
	v_pk_add_f32 v[4:5], v[28:29], v[4:5]
	v_pk_fma_f32 v[28:29], v[78:79], s[26:27], v[152:153] neg_lo:[0,0,1] neg_hi:[0,0,1]
	v_accvgpr_write_b32 a153, v5
	v_accvgpr_write_b32 a152, v4
	v_pk_fma_f32 v[4:5], v[8:9], s[16:17], v[142:143] neg_lo:[0,0,1] neg_hi:[0,0,1]
	v_mov_b32_e32 v167, v29
	v_pk_fma_f32 v[28:29], v[84:85], s[18:19], v[156:157] neg_lo:[0,0,1] neg_hi:[0,0,1]
	v_mov_b32_e32 v149, v5
	;; [unrolled: 2-line block ×4, first 2 shown]
	v_pk_add_f32 v[4:5], v[64:65], v[148:149]
	v_mov_b32_e32 v177, v29
	v_mov_b32_e32 v129, v7
	v_pk_add_f32 v[6:7], v[64:65], v[32:33]
	v_pk_fma_f32 v[28:29], v[78:79], s[24:25], v[52:53] neg_lo:[0,0,1] neg_hi:[0,0,1]
	v_pk_add_f32 v[4:5], v[154:155], v[4:5]
	v_pk_add_f32 v[6:7], v[128:129], v[6:7]
	v_mov_b32_e32 v137, v29
	v_pk_fma_f32 v[28:29], v[84:85], s[22:23], v[134:135] neg_lo:[0,0,1] neg_hi:[0,0,1]
	v_pk_add_f32 v[4:5], v[166:167], v[4:5]
	v_pk_add_f32 v[6:7], v[136:137], v[6:7]
	v_mov_b32_e32 v141, v29
	v_pk_fma_f32 v[28:29], v[98:99], s[14:15], v[138:139] neg_lo:[0,0,1] neg_hi:[0,0,1]
	v_pk_add_f32 v[4:5], v[172:173], v[4:5]
	v_pk_add_f32 v[6:7], v[140:141], v[6:7]
	v_mov_b32_e32 v145, v29
	v_pk_add_f32 v[4:5], v[176:177], v[4:5]
	v_pk_add_f32 v[6:7], v[144:145], v[6:7]
	ds_write2_b64 v37, v[4:5], v[6:7] offset0:56 offset1:63
	v_pk_fma_f32 v[4:5], v[8:9], s[18:19], v[70:71] neg_lo:[0,0,1] neg_hi:[0,0,1]
	v_pk_fma_f32 v[6:7], v[72:73], s[20:21], v[76:77] neg_lo:[0,0,1] neg_hi:[0,0,1]
	v_mov_b32_e32 v69, v5
	v_pk_add_f32 v[4:5], v[64:65], v[68:69]
	v_mov_b32_e32 v75, v7
	v_pk_fma_f32 v[6:7], v[78:79], s[16:17], v[82:83] neg_lo:[0,0,1] neg_hi:[0,0,1]
	v_pk_add_f32 v[4:5], v[74:75], v[4:5]
	v_mov_b32_e32 v81, v7
	v_pk_fma_f32 v[6:7], v[84:85], s[12:13], v[96:97] neg_lo:[0,0,1] neg_hi:[0,0,1]
	;; [unrolled: 3-line block ×3, first 2 shown]
	v_pk_add_f32 v[4:5], v[86:87], v[4:5]
	v_mov_b32_e32 v101, v7
	v_accvgpr_write_b32 a212, v119
	v_accvgpr_write_b32 a216, v127
	v_accvgpr_write_b32 a242, v15
	v_accvgpr_write_b32 a246, v107
	v_accvgpr_write_b32 a248, v123
	v_accvgpr_write_b32 a48, v25
	v_accvgpr_write_b32 a6, v161
	v_accvgpr_write_b32 a116, v90
	v_accvgpr_write_b32 a204, v89
	v_accvgpr_write_b32 a110, v108
	v_accvgpr_write_b32 a112, v110
	v_accvgpr_write_b32 a200, v109
	v_accvgpr_mov_b32 a22, a175
	v_accvgpr_write_b32 a190, v116
	v_accvgpr_write_b32 a192, v118
	;; [unrolled: 1-line block ×20, first 2 shown]
	v_mov_b32_e32 v129, 0
	v_pk_add_f32 v[4:5], v[100:101], v[4:5]
	v_accvgpr_write_b32 a11, v37
	ds_write_b64 v37, v[4:5] offset:560
	s_and_saveexec_b64 s[0:1], vcc
	s_cbranch_execz .LBB0_5
; %bb.4:
	v_accvgpr_read_b32 v4, a19
	v_mul_u32_u24_e32 v4, 0x4d, v4
	v_accvgpr_read_b32 v5, a55
	v_add_lshl_u32 v6, v4, v5, 3
	v_pk_add_f32 v[4:5], v[10:11], v[180:181]
	v_mov_b32_e32 v31, v41
	v_pk_add_f32 v[4:5], v[4:5], v[164:165]
	v_mov_b32_e32 v35, v43
	;; [unrolled: 2-line block ×5, first 2 shown]
	v_pk_add_f32 v[0:1], v[0:1], v[2:3]
	v_pk_add_f32 v[2:3], v[10:11], v[30:31]
	;; [unrolled: 1-line block ×10, first 2 shown]
	ds_write2_b64 v6, v[0:1], v[2:3] offset1:7
	v_accvgpr_read_b32 v0, a94
	v_accvgpr_read_b32 v1, a95
	v_accvgpr_read_b32 v2, a96
	v_accvgpr_read_b32 v3, a97
	ds_write2_b64 v6, v[0:1], v[2:3] offset0:14 offset1:21
	v_accvgpr_read_b32 v0, a102
	v_accvgpr_read_b32 v1, a103
	v_accvgpr_read_b32 v2, a104
	v_accvgpr_read_b32 v3, a105
	ds_write2_b64 v6, v[0:1], v[2:3] offset0:28 offset1:35
	;; [unrolled: 5-line block ×4, first 2 shown]
	ds_write_b64 v6, a[152:153] offset:560
.LBB0_5:
	s_or_b64 exec, exec, s[0:1]
	v_accvgpr_read_b32 v63, a3
	s_movk_i32 s0, 0xffea
	v_accvgpr_read_b32 v62, a2
	s_mov_b32 s1, -1
	v_accvgpr_read_b32 v49, a27
	v_lshl_add_u64 v[0:1], v[62:63], 0, s[0:1]
	v_cmp_gt_u16_e64 s[0:1], 22, v62
	v_accvgpr_read_b32 v48, a26
	v_lshlrev_b32_e32 v41, 5, v62
	v_cndmask_b32_e64 v15, v1, v49, s[0:1]
	v_cndmask_b32_e64 v14, v0, v48, s[0:1]
	v_lshlrev_b64 v[0:1], 5, v[14:15]
	v_lshl_add_u64 v[0:1], s[10:11], 0, v[0:1]
	s_movk_i32 s0, 0xd5
	v_accvgpr_read_b32 v60, a156
	v_accvgpr_read_b32 v50, a154
	s_waitcnt lgkmcnt(0)
	; wave barrier
	s_waitcnt lgkmcnt(0)
	global_load_dwordx4 v[96:99], v41, s[10:11] offset:576
	global_load_dwordx4 v[80:83], v41, s[10:11] offset:560
	global_load_dwordx4 v[100:103], v[0:1], off offset:576
	global_load_dwordx4 v[84:87], v[0:1], off offset:560
	v_mul_lo_u16_sdwa v0, v60, s0 dst_sel:DWORD dst_unused:UNUSED_PAD src0_sel:BYTE_0 src1_sel:DWORD
	v_mul_lo_u16_sdwa v1, v50, s0 dst_sel:DWORD dst_unused:UNUSED_PAD src0_sel:BYTE_0 src1_sel:DWORD
	v_lshrrev_b16_e32 v43, 14, v0
	v_lshrrev_b16_e32 v1, 14, v1
	v_mul_lo_u16_e32 v0, 0x4d, v43
	v_mul_lo_u16_e32 v1, 0x4d, v1
	v_sub_u16_e32 v0, v60, v0
	v_sub_u16_e32 v15, v50, v1
	v_mov_b32_e32 v1, 5
	v_lshlrev_b32_sdwa v1, v1, v15 dst_sel:DWORD dst_unused:UNUSED_PAD src0_sel:DWORD src1_sel:BYTE_0
	v_and_b32_e32 v45, 0xff, v0
	global_load_dwordx4 v[76:79], v1, s[10:11] offset:576
	global_load_dwordx4 v[140:143], v1, s[10:11] offset:560
	v_lshlrev_b32_e32 v0, 5, v45
	global_load_dwordx4 v[112:115], v0, s[10:11] offset:576
	global_load_dwordx4 v[108:111], v0, s[10:11] offset:560
	v_add_u32_e32 v123, 0x800, v36
	v_add_u32_e32 v37, 0x1800, v36
	;; [unrolled: 1-line block ×4, first 2 shown]
	ds_read2_b64 v[0:3], v123 offset0:74 offset1:129
	ds_read2_b64 v[8:11], v37 offset0:2 offset1:57
	;; [unrolled: 1-line block ×8, first 2 shown]
	ds_read2_b64 v[182:185], v36 offset1:55
	s_mov_b32 s12, 0x3f737871
	v_accvgpr_read_b32 v46, a14
	s_mov_b32 s14, 0x3f167918
	s_mov_b64 s[0:1], 0x113
	s_mov_b64 s[16:17], 0x14a
	v_lshlrev_b32_e32 v128, 3, v62
	s_mov_b32 s18, 0x3f955555
	v_accvgpr_mov_b32 a217, a216
	v_accvgpr_mov_b32 a125, a124
	;; [unrolled: 1-line block ×30, first 2 shown]
	v_mov_b32_e32 v127, v126
	v_accvgpr_mov_b32 a37, a36
	v_accvgpr_mov_b32 a183, a182
	v_accvgpr_mov_b32 a35, a34
	v_accvgpr_mov_b32 a185, a184
	v_accvgpr_mov_b32 a33, a32
	s_waitcnt vmcnt(7)
	v_mov_b32_e32 v32, v99
	s_waitcnt vmcnt(6)
	v_mov_b32_e32 v12, v83
	s_waitcnt lgkmcnt(8)
	v_pk_mul_f32 v[4:5], v[2:3], v[80:81] op_sel:[0,1]
	s_waitcnt lgkmcnt(6)
	v_pk_mul_f32 v[6:7], v[22:23], v[96:97] op_sel:[0,1]
	v_pk_fma_f32 v[152:153], v[2:3], v[80:81], v[4:5] op_sel:[0,0,1] op_sel_hi:[1,1,0] neg_lo:[0,0,1] neg_hi:[0,0,1]
	v_pk_fma_f32 v[2:3], v[2:3], v[80:81], v[4:5] op_sel:[0,0,1] op_sel_hi:[1,0,0]
	v_pk_mul_f32 v[4:5], v[8:9], v[12:13] op_sel_hi:[1,0]
	v_pk_fma_f32 v[158:159], v[22:23], v[96:97], v[6:7] op_sel:[0,0,1] op_sel_hi:[1,1,0] neg_lo:[0,0,1] neg_hi:[0,0,1]
	v_pk_fma_f32 v[6:7], v[22:23], v[96:97], v[6:7] op_sel:[0,0,1] op_sel_hi:[1,0,0]
	s_waitcnt lgkmcnt(5)
	v_pk_mul_f32 v[12:13], v[24:25], v[32:33] op_sel_hi:[1,0]
	v_mov_b32_e32 v153, v3
	v_pk_fma_f32 v[52:53], v[8:9], v[82:83], v[4:5] op_sel:[0,0,1] op_sel_hi:[1,1,0] neg_lo:[0,0,1] neg_hi:[0,0,1]
	v_pk_fma_f32 v[2:3], v[8:9], v[82:83], v[4:5] op_sel:[0,0,1] op_sel_hi:[1,0,0]
	v_mov_b32_e32 v159, v7
	v_pk_fma_f32 v[4:5], v[24:25], v[98:99], v[12:13] op_sel:[0,0,1] op_sel_hi:[1,1,0] neg_lo:[0,0,1] neg_hi:[0,0,1]
	v_pk_fma_f32 v[6:7], v[24:25], v[98:99], v[12:13] op_sel:[0,0,1] op_sel_hi:[1,0,0]
	v_mov_b32_e32 v53, v3
	s_waitcnt vmcnt(4) lgkmcnt(2)
	v_pk_mul_f32 v[2:3], v[16:17], v[84:85] op_sel:[0,1]
	v_mov_b32_e32 v5, v7
	s_waitcnt vmcnt(2)
	v_mov_b32_e32 v8, v143
	v_pk_fma_f32 v[6:7], v[16:17], v[84:85], v[2:3] op_sel:[0,0,1] op_sel_hi:[1,0,0]
	v_pk_mul_f32 v[8:9], v[30:31], v[8:9] op_sel_hi:[1,0]
	s_waitcnt vmcnt(0)
	v_mov_b32_e32 v6, v111
	v_pk_fma_f32 v[156:157], v[16:17], v[84:85], v[2:3] op_sel:[0,0,1] op_sel_hi:[1,1,0] neg_lo:[0,0,1] neg_hi:[0,0,1]
	v_mov_b32_e32 v44, v115
	v_pk_fma_f32 v[2:3], v[30:31], v[142:143], v[8:9] op_sel:[0,0,1] op_sel_hi:[1,1,0] neg_lo:[0,0,1] neg_hi:[0,0,1]
	v_pk_fma_f32 v[32:33], v[30:31], v[142:143], v[8:9] op_sel:[0,0,1] op_sel_hi:[1,0,0]
	v_pk_mul_f32 v[8:9], v[28:29], v[6:7] op_sel_hi:[1,0]
	v_mov_b32_e32 v40, v87
	v_pk_fma_f32 v[130:131], v[28:29], v[110:111], v[8:9] op_sel:[0,0,1] op_sel_hi:[1,1,0] neg_lo:[0,0,1] neg_hi:[0,0,1]
	v_pk_fma_f32 v[150:151], v[28:29], v[110:111], v[8:9] op_sel:[0,0,1] op_sel_hi:[1,0,0]
	v_pk_mul_f32 v[8:9], v[132:133], v[44:45] op_sel_hi:[1,0]
	;; [unrolled: 4-line block ×3, first 2 shown]
	v_pk_add_f32 v[216:217], v[152:153], v[4:5] neg_lo:[0,1] neg_hi:[0,1]
	v_pk_fma_f32 v[54:55], v[10:11], v[86:87], v[8:9] op_sel:[0,0,1] op_sel_hi:[1,1,0] neg_lo:[0,0,1] neg_hi:[0,0,1]
	v_pk_fma_f32 v[56:57], v[10:11], v[86:87], v[8:9] op_sel:[0,0,1] op_sel_hi:[1,0,0]
	s_waitcnt lgkmcnt(1)
	v_pk_mul_f32 v[8:9], v[136:137], v[100:101] op_sel:[0,1]
	v_pk_add_f32 v[10:11], v[4:5], v[158:159] neg_lo:[0,1] neg_hi:[0,1]
	v_pk_fma_f32 v[58:59], v[136:137], v[100:101], v[8:9] op_sel:[0,0,1] op_sel_hi:[1,1,0] neg_lo:[0,0,1] neg_hi:[0,0,1]
	v_pk_fma_f32 v[166:167], v[136:137], v[100:101], v[8:9] op_sel:[0,0,1] op_sel_hi:[1,0,0]
	v_pk_mul_f32 v[8:9], v[26:27], v[42:43] op_sel_hi:[1,0]
	v_mov_b32_e32 v12, v79
	v_pk_fma_f32 v[210:211], v[26:27], v[102:103], v[8:9] op_sel:[0,0,1] op_sel_hi:[1,1,0] neg_lo:[0,0,1] neg_hi:[0,0,1]
	v_pk_fma_f32 v[212:213], v[26:27], v[102:103], v[8:9] op_sel:[0,0,1] op_sel_hi:[1,0,0]
	v_pk_add_f32 v[8:9], v[152:153], v[52:53] neg_lo:[0,1] neg_hi:[0,1]
	v_pk_mul_f32 v[12:13], v[134:135], v[12:13] op_sel_hi:[1,0]
	v_pk_add_f32 v[214:215], v[8:9], v[10:11]
	v_pk_add_f32 v[8:9], v[52:53], v[158:159]
	v_pk_mul_f32 v[10:11], v[216:217], s[12:13] op_sel_hi:[1,0]
	s_movk_i32 s13, 0x1a99
	s_waitcnt lgkmcnt(0)
	v_pk_fma_f32 v[8:9], v[8:9], 0.5, v[182:183] op_sel_hi:[1,0,1] neg_lo:[1,0,0] neg_hi:[1,0,0]
	v_pk_add_f32 v[218:219], v[52:53], v[158:159] neg_lo:[0,1] neg_hi:[0,1]
	v_mul_u32_u24_sdwa v3, v46, s13 dst_sel:DWORD dst_unused:UNUSED_PAD src0_sel:WORD_0 src1_sel:DWORD
	v_pk_fma_f32 v[16:17], v[134:135], v[78:79], v[12:13] op_sel:[0,0,1] op_sel_hi:[1,1,0] neg_lo:[0,0,1] neg_hi:[0,0,1]
	v_pk_fma_f32 v[30:31], v[134:135], v[78:79], v[12:13] op_sel:[0,0,1] op_sel_hi:[1,0,0]
	v_pk_add_f32 v[12:13], v[8:9], v[10:11] op_sel:[0,1] op_sel_hi:[1,0] neg_lo:[0,1] neg_hi:[0,1]
	v_pk_add_f32 v[8:9], v[8:9], v[10:11] op_sel:[0,1] op_sel_hi:[1,0]
	v_pk_mul_f32 v[10:11], v[218:219], s[14:15] op_sel_hi:[1,0]
	v_lshrrev_b32_e32 v40, 19, v3
	v_pk_add_f32 v[222:223], v[12:13], v[10:11] op_sel:[0,1] op_sel_hi:[1,0] neg_lo:[0,1] neg_hi:[0,1]
	v_mul_lo_u16_e32 v3, 0x4d, v40
	v_lshl_add_u64 v[12:13], v[62:63], 0, s[0:1]
	v_sub_u16_e32 v42, v46, v3
	v_mul_u32_u24_sdwa v3, v12, s13 dst_sel:DWORD dst_unused:UNUSED_PAD src0_sel:WORD_0 src1_sel:DWORD
	v_lshrrev_b32_e32 v13, 19, v3
	v_pk_add_f32 v[220:221], v[8:9], v[10:11] op_sel:[0,1] op_sel_hi:[1,0]
	v_mul_lo_u16_e32 v3, 0x4d, v13
	v_lshl_add_u64 v[10:11], v[62:63], 0, s[16:17]
	v_sub_u16_e32 v44, v12, v3
	v_mul_u32_u24_sdwa v3, v10, s13 dst_sel:DWORD dst_unused:UNUSED_PAD src0_sel:WORD_0 src1_sel:DWORD
	v_lshrrev_b32_e32 v3, 19, v3
	v_pk_mul_f32 v[22:23], v[18:19], v[108:109] op_sel:[0,1]
	v_lshl_add_u64 v[8:9], s[8:9], 0, v[128:129]
	v_lshlrev_b16_e32 v128, 5, v42
	v_mul_lo_u16_e32 v3, 0x4d, v3
	v_pk_fma_f32 v[34:35], v[18:19], v[108:109], v[22:23] op_sel:[0,0,1] op_sel_hi:[1,1,0] neg_lo:[0,0,1] neg_hi:[0,0,1]
	v_pk_fma_f32 v[146:147], v[18:19], v[108:109], v[22:23] op_sel:[0,0,1] op_sel_hi:[1,0,0]
	v_lshl_add_u64 v[18:19], s[10:11], 0, v[128:129]
	v_lshlrev_b16_e32 v128, 5, v44
	v_sub_u16_e32 v11, v10, v3
	v_pk_mul_f32 v[24:25], v[138:139], v[112:113] op_sel:[0,1]
	v_lshl_add_u64 v[22:23], s[10:11], 0, v[128:129]
	v_lshlrev_b16_e32 v128, 5, v11
	v_pk_fma_f32 v[38:39], v[138:139], v[112:113], v[24:25] op_sel:[0,0,1] op_sel_hi:[1,1,0] neg_lo:[0,0,1] neg_hi:[0,0,1]
	v_pk_fma_f32 v[148:149], v[138:139], v[112:113], v[24:25] op_sel:[0,0,1] op_sel_hi:[1,0,0]
	v_lshl_add_u64 v[24:25], s[10:11], 0, v[128:129]
	global_load_dwordx4 v[168:171], v[18:19], off offset:576
	global_load_dwordx4 v[88:91], v[18:19], off offset:560
	;; [unrolled: 1-line block ×6, first 2 shown]
	v_pk_add_f32 v[26:27], v[182:183], v[152:153]
	s_mov_b32 s8, 0x3e9e377a
	v_pk_add_f32 v[26:27], v[26:27], v[52:53]
	v_mov_b32_e32 v225, v221
	v_pk_add_f32 v[26:27], v[26:27], v[158:159]
	v_mov_b32_e32 v221, v223
	v_pk_add_f32 v[128:129], v[26:27], v[4:5]
	v_pk_fma_f32 v[220:221], v[214:215], s[8:9], v[220:221] op_sel_hi:[1,0,1]
	v_accvgpr_write_b32 a160, v143
	v_accvgpr_write_b32 a172, v79
	;; [unrolled: 1-line block ×5, first 2 shown]
	v_add_u32_e32 v103, 0x1000, v36
	v_add_u32_e32 v79, 0x2800, v36
	;; [unrolled: 1-line block ×5, first 2 shown]
	ds_read_b64 v[18:19], v36 offset:14960
	ds_read2_b64 v[186:189], v103 offset0:148 offset1:203
	ds_read2_b64 v[190:193], v79 offset0:150 offset1:205
	;; [unrolled: 1-line block ×8, first 2 shown]
	s_waitcnt lgkmcnt(0)
	; wave barrier
	s_waitcnt lgkmcnt(0)
	ds_write2_b64 v36, v[128:129], v[220:221] offset1:77
	v_pk_add_f32 v[52:53], v[52:53], v[152:153] neg_lo:[0,1] neg_hi:[0,1]
	v_pk_add_f32 v[128:129], v[152:153], v[4:5]
	v_pk_add_f32 v[4:5], v[158:159], v[4:5] neg_lo:[0,1] neg_hi:[0,1]
	v_mov_b32_e32 v224, v222
	v_pk_add_f32 v[4:5], v[52:53], v[4:5]
	v_pk_fma_f32 v[52:53], v[128:129], 0.5, v[182:183] op_sel_hi:[1,0,1] neg_lo:[1,0,0] neg_hi:[1,0,0]
	v_pk_mul_f32 v[128:129], v[218:219], s[12:13] op_sel_hi:[1,0]
	v_mov_b32_e32 v157, v7
	v_pk_add_f32 v[152:153], v[52:53], v[128:129] op_sel:[0,1] op_sel_hi:[1,0]
	v_pk_add_f32 v[52:53], v[52:53], v[128:129] op_sel:[0,1] op_sel_hi:[1,0] neg_lo:[0,1] neg_hi:[0,1]
	v_pk_mul_f32 v[128:129], v[216:217], s[14:15] op_sel_hi:[1,0]
	v_mov_b32_e32 v55, v57
	v_pk_add_f32 v[52:53], v[52:53], v[128:129] op_sel:[0,1] op_sel_hi:[1,0]
	v_pk_add_f32 v[128:129], v[152:153], v[128:129] op_sel:[0,1] op_sel_hi:[1,0] neg_lo:[0,1] neg_hi:[0,1]
	v_mov_b32_e32 v153, v53
	v_mov_b32_e32 v152, v128
	;; [unrolled: 1-line block ×3, first 2 shown]
	v_pk_fma_f32 v[128:129], v[4:5], s[8:9], v[152:153] op_sel_hi:[1,0,1]
	v_pk_fma_f32 v[4:5], v[4:5], s[8:9], v[52:53] op_sel_hi:[1,0,1]
	ds_write2_b64 v36, v[4:5], v[128:129] offset0:154 offset1:231
	v_mov_b32_e32 v59, v167
	v_mov_b32_e32 v211, v213
	v_pk_fma_f32 v[4:5], v[214:215], s[8:9], v[224:225] op_sel_hi:[1,0,1]
	ds_write_b64 v36, v[4:5] offset:2464
	v_pk_add_f32 v[4:5], v[156:157], v[54:55] neg_lo:[0,1] neg_hi:[0,1]
	v_pk_add_f32 v[6:7], v[210:211], v[58:59] neg_lo:[0,1] neg_hi:[0,1]
	v_pk_add_f32 v[52:53], v[156:157], v[210:211] neg_lo:[0,1] neg_hi:[0,1]
	v_pk_add_f32 v[4:5], v[4:5], v[6:7]
	v_pk_add_f32 v[6:7], v[54:55], v[58:59]
	v_pk_mul_f32 v[56:57], v[52:53], s[12:13] op_sel_hi:[1,0]
	v_pk_fma_f32 v[6:7], v[6:7], 0.5, v[184:185] op_sel_hi:[1,0,1] neg_lo:[1,0,0] neg_hi:[1,0,0]
	v_mov_b32_e32 v3, 0x181
	v_pk_add_f32 v[128:129], v[6:7], v[56:57] op_sel:[0,1] op_sel_hi:[1,0]
	v_pk_add_f32 v[6:7], v[6:7], v[56:57] op_sel:[0,1] op_sel_hi:[1,0] neg_lo:[0,1] neg_hi:[0,1]
	v_pk_add_f32 v[56:57], v[54:55], v[58:59] neg_lo:[0,1] neg_hi:[0,1]
	v_cmp_lt_u16_e64 s[0:1], 21, v62
	v_pk_mul_f32 v[152:153], v[56:57], s[14:15] op_sel_hi:[1,0]
	v_pk_mul_f32 v[56:57], v[56:57], s[12:13] op_sel_hi:[1,0]
	v_pk_add_f32 v[6:7], v[6:7], v[152:153] op_sel:[0,1] op_sel_hi:[1,0] neg_lo:[0,1] neg_hi:[0,1]
	v_pk_add_f32 v[128:129], v[128:129], v[152:153] op_sel:[0,1] op_sel_hi:[1,0]
	v_pk_add_f32 v[152:153], v[184:185], v[156:157]
	v_cndmask_b32_e64 v3, 0, v3, s[0:1]
	v_pk_add_f32 v[152:153], v[152:153], v[54:55]
	v_mov_b32_e32 v158, v128
	v_pk_add_f32 v[152:153], v[152:153], v[58:59]
	v_mov_b32_e32 v159, v7
	v_add_lshl_u32 v3, v14, v3, 3
	v_pk_add_f32 v[152:153], v[152:153], v[210:211]
	v_pk_fma_f32 v[158:159], v[4:5], s[8:9], v[158:159] op_sel_hi:[1,0,1]
	ds_write2_b64 v3, v[152:153], v[158:159] offset1:77
	v_pk_add_f32 v[152:153], v[156:157], v[210:211]
	v_pk_add_f32 v[54:55], v[54:55], v[156:157] neg_lo:[0,1] neg_hi:[0,1]
	v_pk_fma_f32 v[152:153], v[152:153], 0.5, v[184:185] op_sel_hi:[1,0,1] neg_lo:[1,0,0] neg_hi:[1,0,0]
	v_pk_add_f32 v[58:59], v[58:59], v[210:211] neg_lo:[0,1] neg_hi:[0,1]
	v_pk_mul_f32 v[52:53], v[52:53], s[14:15] op_sel_hi:[1,0]
	v_pk_add_f32 v[54:55], v[54:55], v[58:59]
	v_pk_add_f32 v[58:59], v[152:153], v[56:57] op_sel:[0,1] op_sel_hi:[1,0] neg_lo:[0,1] neg_hi:[0,1]
	v_pk_add_f32 v[56:57], v[152:153], v[56:57] op_sel:[0,1] op_sel_hi:[1,0]
	v_mov_b32_e32 v7, v129
	v_pk_add_f32 v[56:57], v[56:57], v[52:53] op_sel:[0,1] op_sel_hi:[1,0] neg_lo:[0,1] neg_hi:[0,1]
	v_pk_add_f32 v[52:53], v[58:59], v[52:53] op_sel:[0,1] op_sel_hi:[1,0]
	v_mov_b32_e32 v59, v57
	v_mov_b32_e32 v58, v52
	;; [unrolled: 1-line block ×7, first 2 shown]
	v_pk_fma_f32 v[4:5], v[4:5], s[8:9], v[6:7] op_sel_hi:[1,0,1]
	v_pk_fma_f32 v[52:53], v[54:55], s[8:9], v[58:59] op_sel_hi:[1,0,1]
	v_pk_fma_f32 v[54:55], v[54:55], s[8:9], v[56:57] op_sel_hi:[1,0,1]
	ds_write_b64 v3, v[4:5] offset:2464
	v_pk_add_f32 v[4:5], v[34:35], v[130:131] neg_lo:[0,1] neg_hi:[0,1]
	v_pk_add_f32 v[6:7], v[144:145], v[38:39] neg_lo:[0,1] neg_hi:[0,1]
	ds_write2_b64 v3, v[52:53], v[54:55] offset0:154 offset1:231
	v_pk_add_f32 v[4:5], v[4:5], v[6:7]
	v_pk_add_f32 v[6:7], v[130:131], v[38:39]
	v_pk_add_f32 v[52:53], v[34:35], v[144:145] neg_lo:[0,1] neg_hi:[0,1]
	v_pk_fma_f32 v[6:7], v[6:7], 0.5, v[206:207] op_sel_hi:[1,0,1] neg_lo:[1,0,0] neg_hi:[1,0,0]
	v_pk_mul_f32 v[54:55], v[52:53], s[12:13] op_sel_hi:[1,0]
	v_accvgpr_write_b32 a131, v3
	v_pk_add_f32 v[56:57], v[6:7], v[54:55] op_sel:[0,1] op_sel_hi:[1,0]
	v_pk_add_f32 v[6:7], v[6:7], v[54:55] op_sel:[0,1] op_sel_hi:[1,0] neg_lo:[0,1] neg_hi:[0,1]
	v_pk_add_f32 v[54:55], v[130:131], v[38:39] neg_lo:[0,1] neg_hi:[0,1]
	v_mul_u32_u24_e32 v3, 0x181, v43
	v_pk_mul_f32 v[58:59], v[54:55], s[14:15] op_sel_hi:[1,0]
	v_add_lshl_u32 v14, v3, v45, 3
	v_pk_add_f32 v[6:7], v[6:7], v[58:59] op_sel:[0,1] op_sel_hi:[1,0] neg_lo:[0,1] neg_hi:[0,1]
	v_pk_add_f32 v[56:57], v[56:57], v[58:59] op_sel:[0,1] op_sel_hi:[1,0]
	v_pk_add_f32 v[58:59], v[206:207], v[34:35]
	v_mov_b32_e32 v128, v56
	v_pk_add_f32 v[58:59], v[58:59], v[130:131]
	v_mov_b32_e32 v129, v7
	v_pk_add_f32 v[58:59], v[58:59], v[38:39]
	v_pk_fma_f32 v[128:129], v[4:5], s[8:9], v[128:129] op_sel_hi:[1,0,1]
	v_pk_add_f32 v[58:59], v[58:59], v[144:145]
	ds_write2_b64 v14, v[58:59], v[128:129] offset1:77
	v_pk_add_f32 v[58:59], v[130:131], v[34:35] neg_lo:[0,1] neg_hi:[0,1]
	v_pk_add_f32 v[34:35], v[34:35], v[144:145]
	v_pk_add_f32 v[38:39], v[38:39], v[144:145] neg_lo:[0,1] neg_hi:[0,1]
	v_pk_fma_f32 v[34:35], v[34:35], 0.5, v[206:207] op_sel_hi:[1,0,1] neg_lo:[1,0,0] neg_hi:[1,0,0]
	v_pk_mul_f32 v[54:55], v[54:55], s[12:13] op_sel_hi:[1,0]
	v_pk_add_f32 v[38:39], v[58:59], v[38:39]
	v_pk_add_f32 v[58:59], v[34:35], v[54:55] op_sel:[0,1] op_sel_hi:[1,0] neg_lo:[0,1] neg_hi:[0,1]
	v_pk_add_f32 v[34:35], v[34:35], v[54:55] op_sel:[0,1] op_sel_hi:[1,0]
	v_pk_mul_f32 v[52:53], v[52:53], s[14:15] op_sel_hi:[1,0]
	v_mov_b32_e32 v3, v33
	v_pk_add_f32 v[34:35], v[34:35], v[52:53] op_sel:[0,1] op_sel_hi:[1,0] neg_lo:[0,1] neg_hi:[0,1]
	v_pk_add_f32 v[52:53], v[58:59], v[52:53] op_sel:[0,1] op_sel_hi:[1,0]
	v_mov_b32_e32 v55, v35
	v_mov_b32_e32 v54, v52
	;; [unrolled: 1-line block ×3, first 2 shown]
	v_pk_fma_f32 v[52:53], v[38:39], s[8:9], v[54:55] op_sel_hi:[1,0,1]
	v_pk_fma_f32 v[34:35], v[38:39], s[8:9], v[34:35] op_sel_hi:[1,0,1]
	ds_write2_b64 v14, v[52:53], v[34:35] offset0:154 offset1:231
	v_pk_mul_f32 v[34:35], v[198:199], v[140:141] op_sel:[0,1]
	v_pk_mul_f32 v[32:33], v[202:203], v[76:77] op_sel:[0,1]
	v_pk_fma_f32 v[38:39], v[198:199], v[140:141], v[34:35] op_sel:[0,0,1] op_sel_hi:[1,1,0] neg_lo:[0,0,1] neg_hi:[0,0,1]
	v_pk_fma_f32 v[34:35], v[198:199], v[140:141], v[34:35] op_sel:[0,0,1] op_sel_hi:[1,0,0]
	v_mov_b32_e32 v7, v57
	v_mov_b32_e32 v39, v35
	v_pk_fma_f32 v[34:35], v[202:203], v[76:77], v[32:33] op_sel:[0,0,1] op_sel_hi:[1,1,0] neg_lo:[0,0,1] neg_hi:[0,0,1]
	v_pk_fma_f32 v[32:33], v[202:203], v[76:77], v[32:33] op_sel:[0,0,1] op_sel_hi:[1,0,0]
	v_mov_b32_e32 v17, v31
	v_mov_b32_e32 v35, v33
	v_pk_fma_f32 v[4:5], v[4:5], s[8:9], v[6:7] op_sel_hi:[1,0,1]
	ds_write_b64 v14, v[4:5] offset:2464
	v_pk_add_f32 v[4:5], v[38:39], v[2:3] neg_lo:[0,1] neg_hi:[0,1]
	v_pk_add_f32 v[6:7], v[16:17], v[34:35] neg_lo:[0,1] neg_hi:[0,1]
	;; [unrolled: 1-line block ×3, first 2 shown]
	v_pk_add_f32 v[4:5], v[4:5], v[6:7]
	v_pk_add_f32 v[6:7], v[2:3], v[34:35]
	v_pk_mul_f32 v[32:33], v[30:31], s[12:13] op_sel_hi:[1,0]
	v_pk_fma_f32 v[6:7], v[6:7], 0.5, v[208:209] op_sel_hi:[1,0,1] neg_lo:[1,0,0] neg_hi:[1,0,0]
	v_accvgpr_write_b32 a137, v14
	v_pk_add_f32 v[52:53], v[6:7], v[32:33] op_sel:[0,1] op_sel_hi:[1,0]
	v_pk_add_f32 v[6:7], v[6:7], v[32:33] op_sel:[0,1] op_sel_hi:[1,0] neg_lo:[0,1] neg_hi:[0,1]
	v_pk_add_f32 v[32:33], v[2:3], v[34:35] neg_lo:[0,1] neg_hi:[0,1]
	v_mov_b32_e32 v14, 3
	v_pk_mul_f32 v[54:55], v[32:33], s[14:15] op_sel_hi:[1,0]
	v_lshlrev_b32_sdwa v43, v14, v15 dst_sel:DWORD dst_unused:UNUSED_PAD src0_sel:DWORD src1_sel:BYTE_0
	v_pk_add_f32 v[14:15], v[208:209], v[38:39]
	v_pk_add_f32 v[6:7], v[6:7], v[54:55] op_sel:[0,1] op_sel_hi:[1,0] neg_lo:[0,1] neg_hi:[0,1]
	v_pk_add_f32 v[52:53], v[52:53], v[54:55] op_sel:[0,1] op_sel_hi:[1,0]
	v_pk_add_f32 v[14:15], v[14:15], v[2:3]
	v_mov_b32_e32 v54, v52
	v_pk_add_f32 v[14:15], v[14:15], v[34:35]
	v_mov_b32_e32 v55, v7
	v_pk_add_f32 v[14:15], v[14:15], v[16:17]
	v_pk_fma_f32 v[54:55], v[4:5], s[8:9], v[54:55] op_sel_hi:[1,0,1]
	v_add_u32_e32 v7, 0x1800, v43
	ds_write2_b64 v7, v[14:15], v[54:55] offset0:2 offset1:79
	v_pk_add_f32 v[14:15], v[38:39], v[16:17]
	v_pk_add_f32 v[2:3], v[2:3], v[38:39] neg_lo:[0,1] neg_hi:[0,1]
	v_pk_add_f32 v[16:17], v[34:35], v[16:17] neg_lo:[0,1] neg_hi:[0,1]
	v_pk_fma_f32 v[14:15], v[14:15], 0.5, v[208:209] op_sel_hi:[1,0,1] neg_lo:[1,0,0] neg_hi:[1,0,0]
	v_pk_add_f32 v[2:3], v[2:3], v[16:17]
	v_pk_mul_f32 v[16:17], v[32:33], s[12:13] op_sel_hi:[1,0]
	s_waitcnt vmcnt(5)
	v_pk_mul_f32 v[150:151], v[204:205], v[168:169] op_sel:[0,1]
	v_pk_add_f32 v[32:33], v[14:15], v[16:17] op_sel:[0,1] op_sel_hi:[1,0] neg_lo:[0,1] neg_hi:[0,1]
	v_pk_add_f32 v[14:15], v[14:15], v[16:17] op_sel:[0,1] op_sel_hi:[1,0]
	v_pk_mul_f32 v[16:17], v[30:31], s[14:15] op_sel_hi:[1,0]
	s_waitcnt vmcnt(4)
	v_pk_mul_f32 v[58:59], v[200:201], v[88:89] op_sel:[0,1]
	v_pk_add_f32 v[14:15], v[14:15], v[16:17] op_sel:[0,1] op_sel_hi:[1,0] neg_lo:[0,1] neg_hi:[0,1]
	v_pk_add_f32 v[16:17], v[32:33], v[16:17] op_sel:[0,1] op_sel_hi:[1,0]
	v_mov_b32_e32 v31, v15
	v_mov_b32_e32 v30, v16
	;; [unrolled: 1-line block ×3, first 2 shown]
	v_pk_fma_f32 v[16:17], v[2:3], s[8:9], v[30:31] op_sel_hi:[1,0,1]
	v_pk_fma_f32 v[2:3], v[2:3], s[8:9], v[14:15] op_sel_hi:[1,0,1]
	ds_write2_b64 v7, v[16:17], v[2:3] offset0:156 offset1:233
	s_waitcnt vmcnt(0)
	v_mov_b32_e32 v2, v107
	v_pk_mul_f32 v[2:3], v[20:21], v[2:3] op_sel_hi:[1,0]
	v_pk_fma_f32 v[152:153], v[204:205], v[168:169], v[150:151] op_sel:[0,0,1] op_sel_hi:[1,1,0] neg_lo:[0,0,1] neg_hi:[0,0,1]
	v_pk_fma_f32 v[14:15], v[20:21], v[106:107], v[2:3] op_sel:[0,0,1] op_sel_hi:[1,1,0] neg_lo:[0,0,1] neg_hi:[0,0,1]
	v_pk_fma_f32 v[2:3], v[20:21], v[106:107], v[2:3] op_sel:[0,0,1] op_sel_hi:[1,0,0]
	v_pk_fma_f32 v[150:151], v[204:205], v[168:169], v[150:151] op_sel:[0,0,1] op_sel_hi:[1,0,0]
	v_mov_b32_e32 v2, v95
	v_pk_mul_f32 v[130:131], v[196:197], v[2:3] op_sel_hi:[1,0]
	v_mov_b32_e32 v2, v91
	v_pk_mul_f32 v[146:147], v[194:195], v[2:3] op_sel_hi:[1,0]
	;; [unrolled: 2-line block ×3, first 2 shown]
	v_mov_b32_e32 v2, v171
	v_pk_fma_f32 v[148:149], v[194:195], v[90:91], v[146:147] op_sel:[0,0,1] op_sel_hi:[1,1,0] neg_lo:[0,0,1] neg_hi:[0,0,1]
	v_pk_fma_f32 v[146:147], v[194:195], v[90:91], v[146:147] op_sel:[0,0,1] op_sel_hi:[1,0,0]
	v_pk_fma_f32 v[156:157], v[28:29], v[174:175], v[154:155] op_sel:[0,0,1] op_sel_hi:[1,1,0] neg_lo:[0,0,1] neg_hi:[0,0,1]
	v_pk_fma_f32 v[28:29], v[28:29], v[174:175], v[154:155] op_sel:[0,0,1] op_sel_hi:[1,0,0]
	v_pk_mul_f32 v[154:155], v[26:27], v[2:3] op_sel_hi:[1,0]
	v_mov_b32_e32 v7, v53
	v_pk_fma_f32 v[128:129], v[200:201], v[88:89], v[58:59] op_sel:[0,0,1] op_sel_hi:[1,1,0] neg_lo:[0,0,1] neg_hi:[0,0,1]
	v_pk_fma_f32 v[58:59], v[200:201], v[88:89], v[58:59] op_sel:[0,0,1] op_sel_hi:[1,0,0]
	v_pk_fma_f32 v[158:159], v[26:27], v[170:171], v[154:155] op_sel:[0,0,1] op_sel_hi:[1,1,0] neg_lo:[0,0,1] neg_hi:[0,0,1]
	v_pk_fma_f32 v[26:27], v[26:27], v[170:171], v[154:155] op_sel:[0,0,1] op_sel_hi:[1,0,0]
	v_mov_b32_e32 v149, v147
	v_mov_b32_e32 v153, v151
	v_pk_fma_f32 v[4:5], v[4:5], s[8:9], v[6:7] op_sel_hi:[1,0,1]
	v_mov_b32_e32 v129, v59
	v_mov_b32_e32 v159, v27
	ds_write_b64 v43, v[4:5] offset:8624
	v_pk_add_f32 v[4:5], v[148:149], v[152:153]
	v_pk_add_f32 v[26:27], v[128:129], v[148:149] neg_lo:[0,1] neg_hi:[0,1]
	v_pk_add_f32 v[58:59], v[158:159], v[152:153] neg_lo:[0,1] neg_hi:[0,1]
	v_pk_fma_f32 v[4:5], v[4:5], 0.5, v[22:23] op_sel_hi:[1,0,1] neg_lo:[1,0,0] neg_hi:[1,0,0]
	v_pk_add_f32 v[6:7], v[128:129], v[158:159] neg_lo:[0,1] neg_hi:[0,1]
	v_pk_add_f32 v[26:27], v[26:27], v[58:59]
	v_pk_fma_f32 v[52:53], v[6:7], s[12:13], v[4:5] op_sel:[1,0,0] op_sel_hi:[0,0,1] neg_lo:[1,0,0] neg_hi:[1,0,0]
	v_pk_fma_f32 v[4:5], v[6:7], s[12:13], v[4:5] op_sel:[1,0,0] op_sel_hi:[0,0,1]
	v_pk_add_f32 v[58:59], v[148:149], v[152:153] neg_lo:[0,1] neg_hi:[0,1]
	v_pk_add_f32 v[146:147], v[22:23], v[128:129]
	s_movk_i32 s0, 0x181
	v_pk_fma_f32 v[4:5], v[58:59], s[14:15], v[4:5] op_sel:[1,0,0] op_sel_hi:[0,0,1]
	v_pk_fma_f32 v[52:53], v[58:59], s[14:15], v[52:53] op_sel:[1,0,0] op_sel_hi:[0,0,1] neg_lo:[1,0,0] neg_hi:[1,0,0]
	v_pk_add_f32 v[146:147], v[146:147], v[148:149]
	v_mad_legacy_u16 v2, v40, s0, v42
	v_pk_add_f32 v[146:147], v[146:147], v[152:153]
	v_mov_b32_e32 v151, v5
	v_mov_b32_e32 v5, v53
	v_lshlrev_b32_e32 v2, 3, v2
	v_pk_add_f32 v[146:147], v[146:147], v[158:159]
	v_pk_fma_f32 v[4:5], v[26:27], s[8:9], v[4:5] op_sel_hi:[1,0,1]
	ds_write2_b64 v2, v[146:147], v[4:5] offset1:77
	v_pk_add_f32 v[4:5], v[148:149], v[128:129] neg_lo:[0,1] neg_hi:[0,1]
	v_pk_add_f32 v[128:129], v[128:129], v[158:159]
	v_pk_mul_f32 v[30:31], v[186:187], v[92:93] op_sel:[0,1]
	v_pk_fma_f32 v[22:23], v[128:129], 0.5, v[22:23] op_sel_hi:[1,0,1] neg_lo:[1,0,0] neg_hi:[1,0,0]
	v_pk_mul_f32 v[54:55], v[190:191], v[172:173] op_sel:[0,1]
	v_pk_fma_f32 v[128:129], v[58:59], s[12:13], v[22:23] op_sel:[1,0,0] op_sel_hi:[0,0,1]
	v_pk_fma_f32 v[22:23], v[58:59], s[12:13], v[22:23] op_sel:[1,0,0] op_sel_hi:[0,0,1] neg_lo:[1,0,0] neg_hi:[1,0,0]
	v_pk_add_f32 v[146:147], v[152:153], v[158:159] neg_lo:[0,1] neg_hi:[0,1]
	v_pk_fma_f32 v[22:23], v[6:7], s[14:15], v[22:23] op_sel:[1,0,0] op_sel_hi:[0,0,1]
	v_pk_fma_f32 v[6:7], v[6:7], s[14:15], v[128:129] op_sel:[1,0,0] op_sel_hi:[0,0,1] neg_lo:[1,0,0] neg_hi:[1,0,0]
	v_pk_fma_f32 v[32:33], v[186:187], v[92:93], v[30:31] op_sel:[0,0,1] op_sel_hi:[1,1,0] neg_lo:[0,0,1] neg_hi:[0,0,1]
	v_pk_fma_f32 v[30:31], v[186:187], v[92:93], v[30:31] op_sel:[0,0,1] op_sel_hi:[1,0,0]
	v_pk_fma_f32 v[56:57], v[190:191], v[172:173], v[54:55] op_sel:[0,0,1] op_sel_hi:[1,1,0] neg_lo:[0,0,1] neg_hi:[0,0,1]
	v_pk_fma_f32 v[54:55], v[190:191], v[172:173], v[54:55] op_sel:[0,0,1] op_sel_hi:[1,0,0]
	;; [unrolled: 2-line block ×3, first 2 shown]
	v_pk_add_f32 v[4:5], v[4:5], v[146:147]
	v_mov_b32_e32 v58, v6
	v_mov_b32_e32 v59, v23
	;; [unrolled: 1-line block ×3, first 2 shown]
	v_pk_fma_f32 v[6:7], v[4:5], s[8:9], v[58:59] op_sel_hi:[1,0,1]
	v_pk_fma_f32 v[4:5], v[4:5], s[8:9], v[22:23] op_sel_hi:[1,0,1]
	v_mov_b32_e32 v33, v31
	v_mov_b32_e32 v145, v131
	;; [unrolled: 1-line block ×4, first 2 shown]
	ds_write2_b64 v2, v[4:5], v[6:7] offset0:154 offset1:231
	v_pk_add_f32 v[4:5], v[32:33], v[144:145] neg_lo:[0,1] neg_hi:[0,1]
	v_pk_add_f32 v[6:7], v[156:157], v[56:57] neg_lo:[0,1] neg_hi:[0,1]
	v_mov_b32_e32 v150, v52
	v_pk_add_f32 v[4:5], v[4:5], v[6:7]
	v_pk_fma_f32 v[6:7], v[26:27], s[8:9], v[150:151] op_sel_hi:[1,0,1]
	ds_write_b64 v2, v[6:7] offset:2464
	v_pk_add_f32 v[6:7], v[144:145], v[56:57]
	v_pk_add_f32 v[22:23], v[32:33], v[156:157] neg_lo:[0,1] neg_hi:[0,1]
	v_pk_fma_f32 v[6:7], v[6:7], 0.5, v[24:25] op_sel_hi:[1,0,1] neg_lo:[1,0,0] neg_hi:[1,0,0]
	v_pk_add_f32 v[28:29], v[144:145], v[56:57] neg_lo:[0,1] neg_hi:[0,1]
	v_pk_fma_f32 v[26:27], v[22:23], s[12:13], v[6:7] op_sel:[1,0,0] op_sel_hi:[0,0,1] neg_lo:[1,0,0] neg_hi:[1,0,0]
	v_pk_fma_f32 v[6:7], v[22:23], s[12:13], v[6:7] op_sel:[1,0,0] op_sel_hi:[0,0,1]
	v_pk_add_f32 v[30:31], v[24:25], v[32:33]
	v_pk_fma_f32 v[6:7], v[28:29], s[14:15], v[6:7] op_sel:[1,0,0] op_sel_hi:[0,0,1]
	v_pk_fma_f32 v[26:27], v[28:29], s[14:15], v[26:27] op_sel:[1,0,0] op_sel_hi:[0,0,1] neg_lo:[1,0,0] neg_hi:[1,0,0]
	v_pk_add_f32 v[30:31], v[30:31], v[144:145]
	v_accvgpr_write_b32 a133, v2
	v_mad_legacy_u16 v2, v13, s0, v44
	v_pk_add_f32 v[30:31], v[30:31], v[56:57]
	v_mov_b32_e32 v53, v7
	v_mov_b32_e32 v7, v27
	v_lshlrev_b32_e32 v13, 3, v2
	v_pk_add_f32 v[30:31], v[30:31], v[156:157]
	v_pk_fma_f32 v[6:7], v[4:5], s[8:9], v[6:7] op_sel_hi:[1,0,1]
	ds_write2_b64 v13, v[30:31], v[6:7] offset1:77
	v_pk_add_f32 v[6:7], v[32:33], v[156:157]
	v_pk_add_f32 v[30:31], v[56:57], v[156:157] neg_lo:[0,1] neg_hi:[0,1]
	v_pk_fma_f32 v[6:7], v[6:7], 0.5, v[24:25] op_sel_hi:[1,0,1] neg_lo:[1,0,0] neg_hi:[1,0,0]
	v_pk_add_f32 v[24:25], v[144:145], v[32:33] neg_lo:[0,1] neg_hi:[0,1]
	v_mov_b32_e32 v2, v179
	v_pk_add_f32 v[24:25], v[24:25], v[30:31]
	v_pk_fma_f32 v[30:31], v[28:29], s[12:13], v[6:7] op_sel:[1,0,0] op_sel_hi:[0,0,1]
	v_pk_fma_f32 v[6:7], v[28:29], s[12:13], v[6:7] op_sel:[1,0,0] op_sel_hi:[0,0,1] neg_lo:[1,0,0] neg_hi:[1,0,0]
	v_pk_fma_f32 v[6:7], v[22:23], s[14:15], v[6:7] op_sel:[1,0,0] op_sel_hi:[0,0,1]
	v_pk_fma_f32 v[22:23], v[22:23], s[14:15], v[30:31] op_sel:[1,0,0] op_sel_hi:[0,0,1] neg_lo:[1,0,0] neg_hi:[1,0,0]
	v_mov_b32_e32 v28, v22
	v_mov_b32_e32 v29, v7
	;; [unrolled: 1-line block ×3, first 2 shown]
	v_pk_mul_f32 v[16:17], v[188:189], v[104:105] op_sel:[0,1]
	v_pk_mul_f32 v[34:35], v[192:193], v[176:177] op_sel:[0,1]
	v_pk_fma_f32 v[22:23], v[24:25], s[8:9], v[28:29] op_sel_hi:[1,0,1]
	v_pk_fma_f32 v[6:7], v[24:25], s[8:9], v[6:7] op_sel_hi:[1,0,1]
	v_mov_b32_e32 v15, v3
	v_pk_mul_f32 v[2:3], v[18:19], v[2:3] op_sel_hi:[1,0]
	v_pk_fma_f32 v[20:21], v[188:189], v[104:105], v[16:17] op_sel:[0,0,1] op_sel_hi:[1,1,0] neg_lo:[0,0,1] neg_hi:[0,0,1]
	v_pk_fma_f32 v[16:17], v[188:189], v[104:105], v[16:17] op_sel:[0,0,1] op_sel_hi:[1,0,0]
	v_pk_fma_f32 v[38:39], v[192:193], v[176:177], v[34:35] op_sel:[0,0,1] op_sel_hi:[1,1,0] neg_lo:[0,0,1] neg_hi:[0,0,1]
	v_pk_fma_f32 v[34:35], v[192:193], v[176:177], v[34:35] op_sel:[0,0,1] op_sel_hi:[1,0,0]
	ds_write2_b64 v13, v[6:7], v[22:23] offset0:154 offset1:231
	v_pk_fma_f32 v[6:7], v[18:19], v[178:179], v[2:3] op_sel:[0,0,1] op_sel_hi:[1,1,0] neg_lo:[0,0,1] neg_hi:[0,0,1]
	v_pk_fma_f32 v[2:3], v[18:19], v[178:179], v[2:3] op_sel:[0,0,1] op_sel_hi:[1,0,0]
	v_mov_b32_e32 v52, v26
	v_mov_b32_e32 v21, v17
	;; [unrolled: 1-line block ×4, first 2 shown]
	v_pk_fma_f32 v[4:5], v[4:5], s[8:9], v[52:53] op_sel_hi:[1,0,1]
	v_pk_add_f32 v[2:3], v[20:21], v[14:15] neg_lo:[0,1] neg_hi:[0,1]
	v_pk_add_f32 v[16:17], v[6:7], v[38:39] neg_lo:[0,1] neg_hi:[0,1]
	ds_write_b64 v13, v[4:5] offset:2464
	v_pk_add_f32 v[4:5], v[14:15], v[38:39]
	v_pk_add_f32 v[2:3], v[2:3], v[16:17]
	v_pk_fma_f32 v[4:5], v[4:5], 0.5, v[0:1] op_sel_hi:[1,0,1] neg_lo:[1,0,0] neg_hi:[1,0,0]
	v_pk_add_f32 v[16:17], v[20:21], v[6:7] neg_lo:[0,1] neg_hi:[0,1]
	v_pk_add_f32 v[22:23], v[14:15], v[38:39] neg_lo:[0,1] neg_hi:[0,1]
	v_pk_fma_f32 v[18:19], v[16:17], s[12:13], v[4:5] op_sel:[1,0,0] op_sel_hi:[0,0,1] neg_lo:[1,0,0] neg_hi:[1,0,0]
	v_pk_fma_f32 v[4:5], v[16:17], s[12:13], v[4:5] op_sel:[1,0,0] op_sel_hi:[0,0,1]
	v_pk_add_f32 v[24:25], v[0:1], v[20:21]
	v_pk_fma_f32 v[4:5], v[22:23], s[14:15], v[4:5] op_sel:[1,0,0] op_sel_hi:[0,0,1]
	v_pk_fma_f32 v[18:19], v[22:23], s[14:15], v[18:19] op_sel:[1,0,0] op_sel_hi:[0,0,1] neg_lo:[1,0,0] neg_hi:[1,0,0]
	v_pk_add_f32 v[24:25], v[24:25], v[14:15]
	v_accvgpr_write_b32 a135, v13
	v_lshlrev_b32_e32 v13, 3, v11
	v_pk_add_f32 v[24:25], v[24:25], v[38:39]
	v_mov_b32_e32 v27, v5
	v_mov_b32_e32 v5, v19
	v_pk_add_f32 v[24:25], v[24:25], v[6:7]
	v_pk_fma_f32 v[4:5], v[2:3], s[8:9], v[4:5] op_sel_hi:[1,0,1]
	v_add_u32_e32 v11, 0x3000, v13
	ds_write2_b64 v11, v[24:25], v[4:5] offset0:4 offset1:81
	v_pk_add_f32 v[4:5], v[20:21], v[6:7]
	v_pk_add_f32 v[6:7], v[38:39], v[6:7] neg_lo:[0,1] neg_hi:[0,1]
	v_pk_fma_f32 v[0:1], v[4:5], 0.5, v[0:1] op_sel_hi:[1,0,1] neg_lo:[1,0,0] neg_hi:[1,0,0]
	v_pk_add_f32 v[4:5], v[14:15], v[20:21] neg_lo:[0,1] neg_hi:[0,1]
	v_mov_b32_e32 v26, v18
	v_pk_add_f32 v[4:5], v[4:5], v[6:7]
	v_pk_fma_f32 v[6:7], v[22:23], s[12:13], v[0:1] op_sel:[1,0,0] op_sel_hi:[0,0,1]
	v_pk_fma_f32 v[0:1], v[22:23], s[12:13], v[0:1] op_sel:[1,0,0] op_sel_hi:[0,0,1] neg_lo:[1,0,0] neg_hi:[1,0,0]
	v_pk_fma_f32 v[0:1], v[16:17], s[14:15], v[0:1] op_sel:[1,0,0] op_sel_hi:[0,0,1]
	v_pk_fma_f32 v[6:7], v[16:17], s[14:15], v[6:7] op_sel:[1,0,0] op_sel_hi:[0,0,1] neg_lo:[1,0,0] neg_hi:[1,0,0]
	v_mov_b32_e32 v14, v6
	v_mov_b32_e32 v15, v1
	;; [unrolled: 1-line block ×3, first 2 shown]
	v_pk_fma_f32 v[2:3], v[2:3], s[8:9], v[26:27] op_sel_hi:[1,0,1]
	v_pk_fma_f32 v[14:15], v[4:5], s[8:9], v[14:15] op_sel_hi:[1,0,1]
	;; [unrolled: 1-line block ×3, first 2 shown]
	ds_write2_b64 v11, v[0:1], v[14:15] offset0:158 offset1:235
	ds_write_b64 v13, v[2:3] offset:14784
	s_waitcnt lgkmcnt(0)
	; wave barrier
	s_waitcnt lgkmcnt(0)
	global_load_dwordx4 v[148:151], v41, s[10:11] offset:3024
	global_load_dwordx4 v[156:159], v41, s[10:11] offset:3040
	v_lshlrev_b32_e32 v6, 5, v48
	ds_read2_b64 v[0:3], v37 offset0:2 offset1:57
	global_load_dwordx4 v[116:119], v6, s[10:11] offset:3024
	global_load_dwordx4 v[128:131], v6, s[10:11] offset:3040
	v_lshlrev_b32_e32 v6, 5, v60
	v_accvgpr_write_b32 a139, v43
	v_lshlrev_b32_e32 v11, 5, v12
	v_accvgpr_write_b32 a141, v13
	s_movk_i32 s0, 0x3000
	v_accvgpr_write_b32 a154, v83
	v_accvgpr_write_b32 a158, v99
	v_accvgpr_write_b32 a156, v87
	v_add_u32_e32 v87, 0x2c00, v36
	v_add_u32_e32 v99, 0xc00, v36
	;; [unrolled: 1-line block ×3, first 2 shown]
	s_mov_b32 s16, 0xbeae86e6
	s_mov_b32 s17, 0x3f08b237
	v_accvgpr_write_b32 a220, v95
	v_accvgpr_write_b32 a222, v91
	v_mov_b32_e32 v91, v123
	v_mov_b32_e32 v95, v125
	v_accvgpr_write_b32 a218, v107
	v_accvgpr_write_b32 a236, v175
	;; [unrolled: 1-line block ×4, first 2 shown]
	v_accvgpr_read_b32 v144, a166
	v_accvgpr_read_b32 v146, a168
	;; [unrolled: 1-line block ×8, first 2 shown]
	v_accvgpr_write_b32 a64, v97
	v_accvgpr_write_b32 a54, v81
	;; [unrolled: 1-line block ×20, first 2 shown]
	s_waitcnt vmcnt(3)
	v_mov_b32_e32 v4, v151
	s_waitcnt lgkmcnt(0)
	v_pk_mul_f32 v[4:5], v[0:1], v[4:5] op_sel_hi:[1,0]
	v_accvgpr_write_b32 a208, v151
	v_pk_fma_f32 v[24:25], v[0:1], v[150:151], v[4:5] op_sel:[0,0,1] op_sel_hi:[1,1,0] neg_lo:[0,0,1] neg_hi:[0,0,1]
	v_pk_fma_f32 v[20:21], v[0:1], v[150:151], v[4:5] op_sel:[0,0,1] op_sel_hi:[1,0,0]
	s_waitcnt vmcnt(1)
	v_mov_b32_e32 v0, v119
	v_pk_mul_f32 v[0:1], v[2:3], v[0:1] op_sel_hi:[1,0]
	v_mov_b32_e32 v4, v159
	v_pk_fma_f32 v[28:29], v[2:3], v[118:119], v[0:1] op_sel:[0,0,1] op_sel_hi:[1,1,0] neg_lo:[0,0,1] neg_hi:[0,0,1]
	v_pk_fma_f32 v[22:23], v[2:3], v[118:119], v[0:1] op_sel:[0,0,1] op_sel_hi:[1,0,0]
	ds_read2_b64 v[0:3], v121 offset0:4 offset1:59
	v_mov_b32_e32 v25, v21
	v_mov_b32_e32 v29, v23
	v_accvgpr_write_b32 a202, v119
	v_accvgpr_write_b32 a210, v159
	s_waitcnt lgkmcnt(0)
	v_pk_mul_f32 v[4:5], v[0:1], v[4:5] op_sel_hi:[1,0]
	s_waitcnt vmcnt(0)
	v_accvgpr_write_b32 a198, v131
	v_pk_fma_f32 v[30:31], v[0:1], v[158:159], v[4:5] op_sel:[0,0,1] op_sel_hi:[1,1,0] neg_lo:[0,0,1] neg_hi:[0,0,1]
	v_pk_fma_f32 v[182:183], v[0:1], v[158:159], v[4:5] op_sel:[0,0,1] op_sel_hi:[1,0,0]
	v_mov_b32_e32 v0, v131
	v_pk_mul_f32 v[0:1], v[2:3], v[0:1] op_sel_hi:[1,0]
	v_mov_b32_e32 v31, v183
	v_pk_fma_f32 v[34:35], v[2:3], v[130:131], v[0:1] op_sel:[0,0,1] op_sel_hi:[1,1,0] neg_lo:[0,0,1] neg_hi:[0,0,1]
	v_pk_fma_f32 v[188:189], v[2:3], v[130:131], v[0:1] op_sel:[0,0,1] op_sel_hi:[1,0,0]
	ds_read2_b64 v[0:3], v123 offset0:184 offset1:239
	global_load_dwordx4 v[152:155], v6, s[10:11] offset:3024
	global_load_dwordx4 v[160:163], v6, s[10:11] offset:3040
	v_lshlrev_b32_e32 v6, 5, v50
	v_mov_b32_e32 v35, v189
	v_accvgpr_write_b32 a46, v157
	s_waitcnt lgkmcnt(0)
	v_pk_mul_f32 v[4:5], v[0:1], v[116:117] op_sel:[0,1]
	v_accvgpr_write_b32 a50, v149
	v_pk_fma_f32 v[208:209], v[0:1], v[116:117], v[4:5] op_sel:[0,0,1] op_sel_hi:[1,1,0] neg_lo:[0,0,1] neg_hi:[0,0,1]
	v_pk_fma_f32 v[190:191], v[0:1], v[116:117], v[4:5] op_sel:[0,0,1] op_sel_hi:[1,0,0]
	v_accvgpr_write_b32 a40, v129
	v_mov_b32_e32 v209, v191
	v_pk_add_f32 v[64:65], v[208:209], v[34:35] neg_lo:[0,1] neg_hi:[0,1]
	v_accvgpr_write_b32 a194, v116
	v_pk_mul_f32 v[66:67], v[64:65], s[12:13] op_sel_hi:[1,0]
	v_accvgpr_write_b32 a196, v118
	v_accvgpr_write_b32 a12, v117
	s_waitcnt vmcnt(1)
	v_pk_mul_f32 v[0:1], v[2:3], v[152:153] op_sel:[0,1]
	s_nop 0
	v_pk_fma_f32 v[14:15], v[2:3], v[152:153], v[0:1] op_sel:[0,0,1] op_sel_hi:[1,1,0] neg_lo:[0,0,1] neg_hi:[0,0,1]
	v_pk_fma_f32 v[132:133], v[2:3], v[152:153], v[0:1] op_sel:[0,0,1] op_sel_hi:[1,0,0]
	ds_read2_b64 v[0:3], v125 offset0:186 offset1:241
	v_lshlrev_b32_e32 v15, 5, v10
	v_accvgpr_write_b32 a214, v155
	s_waitcnt vmcnt(0)
	v_accvgpr_write_b32 a250, v163
	v_accvgpr_write_b32 a10, v161
	s_waitcnt lgkmcnt(0)
	v_pk_mul_f32 v[4:5], v[0:1], v[128:129] op_sel:[0,1]
	v_accvgpr_write_b32 a52, v153
	v_pk_fma_f32 v[210:211], v[0:1], v[128:129], v[4:5] op_sel:[0,0,1] op_sel_hi:[1,1,0] neg_lo:[0,0,1] neg_hi:[0,0,1]
	v_pk_fma_f32 v[196:197], v[0:1], v[128:129], v[4:5] op_sel:[0,0,1] op_sel_hi:[1,0,0]
	v_pk_mul_f32 v[0:1], v[2:3], v[160:161] op_sel:[0,1]
	v_mov_b32_e32 v4, v155
	v_pk_fma_f32 v[16:17], v[2:3], v[160:161], v[0:1] op_sel:[0,0,1] op_sel_hi:[1,1,0] neg_lo:[0,0,1] neg_hi:[0,0,1]
	v_pk_fma_f32 v[134:135], v[2:3], v[160:161], v[0:1] op_sel:[0,0,1] op_sel_hi:[1,0,0]
	ds_read2_b64 v[0:3], v37 offset0:112 offset1:167
	global_load_dwordx4 v[164:167], v6, s[10:11] offset:3024
	global_load_dwordx4 v[200:203], v6, s[10:11] offset:3040
	v_lshlrev_b32_e32 v6, 5, v46
	v_mov_b32_e32 v211, v197
	v_pk_add_f32 v[32:33], v[34:35], v[210:211] neg_lo:[0,1] neg_hi:[0,1]
	s_waitcnt lgkmcnt(0)
	v_pk_mul_f32 v[4:5], v[0:1], v[4:5] op_sel_hi:[1,0]
	v_pk_add_f32 v[70:71], v[28:29], v[210:211] neg_lo:[0,1] neg_hi:[0,1]
	v_pk_fma_f32 v[18:19], v[0:1], v[154:155], v[4:5] op_sel:[0,0,1] op_sel_hi:[1,1,0] neg_lo:[0,0,1] neg_hi:[0,0,1]
	v_pk_fma_f32 v[38:39], v[0:1], v[154:155], v[4:5] op_sel:[0,0,1] op_sel_hi:[1,0,0]
	v_mov_b32_e32 v17, v135
	v_mov_b32_e32 v19, v39
	s_waitcnt vmcnt(1)
	v_mov_b32_e32 v0, v167
	v_pk_mul_f32 v[0:1], v[2:3], v[0:1] op_sel_hi:[1,0]
	v_accvgpr_write_b32 a230, v167
	v_pk_fma_f32 v[234:235], v[2:3], v[166:167], v[0:1] op_sel:[0,0,1] op_sel_hi:[1,1,0] neg_lo:[0,0,1] neg_hi:[0,0,1]
	v_pk_fma_f32 v[254:255], v[2:3], v[166:167], v[0:1] op_sel:[0,0,1] op_sel_hi:[1,0,0]
	ds_read2_b64 v[0:3], v103 offset0:38 offset1:93
	global_load_dwordx4 v[192:195], v6, s[10:11] offset:3024
	global_load_dwordx4 v[184:187], v6, s[10:11] offset:3040
	ds_read2_b64 v[220:223], v125 offset0:76 offset1:131
	ds_read2_b64 v[250:253], v36 offset1:55
	v_mov_b32_e32 v235, v255
	s_waitcnt lgkmcnt(2)
	v_pk_mul_f32 v[4:5], v[0:1], v[164:165] op_sel:[0,1]
	s_waitcnt vmcnt(2)
	v_accvgpr_write_b32 a244, v203
	v_pk_fma_f32 v[238:239], v[0:1], v[164:165], v[4:5] op_sel:[0,0,1] op_sel_hi:[1,1,0] neg_lo:[0,0,1] neg_hi:[0,0,1]
	v_pk_fma_f32 v[246:247], v[0:1], v[164:165], v[4:5] op_sel:[0,0,1] op_sel_hi:[1,0,0]
	v_accvgpr_write_b32 a42, v201
	v_mov_b32_e32 v239, v247
	v_accvgpr_write_b32 a44, v165
	s_waitcnt vmcnt(1)
	v_pk_mul_f32 v[0:1], v[2:3], v[192:193] op_sel:[0,1]
	s_nop 0
	v_pk_fma_f32 v[212:213], v[2:3], v[192:193], v[0:1] op_sel:[0,0,1] op_sel_hi:[1,1,0] neg_lo:[0,0,1] neg_hi:[0,0,1]
	v_pk_fma_f32 v[26:27], v[2:3], v[192:193], v[0:1] op_sel:[0,0,1] op_sel_hi:[1,0,0]
	ds_read2_b64 v[0:3], v123 offset0:74 offset1:129
	s_waitcnt vmcnt(0)
	v_mov_b32_e32 v26, v187
	v_mov_b32_e32 v213, v27
	v_accvgpr_write_b32 a234, v195
	v_accvgpr_write_b32 a238, v187
	s_waitcnt lgkmcnt(0)
	v_pk_mul_f32 v[4:5], v[2:3], v[148:149] op_sel:[0,1]
	v_accvgpr_write_b32 a2, v193
	v_pk_fma_f32 v[40:41], v[2:3], v[148:149], v[4:5] op_sel:[0,0,1] op_sel_hi:[1,1,0] neg_lo:[0,0,1] neg_hi:[0,0,1]
	v_pk_fma_f32 v[2:3], v[2:3], v[148:149], v[4:5] op_sel:[0,0,1] op_sel_hi:[1,0,0]
	v_pk_add_f32 v[4:5], v[252:253], v[208:209]
	v_mov_b32_e32 v41, v3
	v_pk_mul_f32 v[2:3], v[222:223], v[156:157] op_sel:[0,1]
	v_pk_add_f32 v[4:5], v[4:5], v[28:29]
	v_pk_fma_f32 v[42:43], v[222:223], v[156:157], v[2:3] op_sel:[0,0,1] op_sel_hi:[1,1,0] neg_lo:[0,0,1] neg_hi:[0,0,1]
	v_pk_fma_f32 v[2:3], v[222:223], v[156:157], v[2:3] op_sel:[0,0,1] op_sel_hi:[1,0,0]
	v_pk_add_f32 v[4:5], v[4:5], v[210:211]
	v_mov_b32_e32 v43, v3
	v_pk_add_f32 v[2:3], v[250:251], v[40:41]
	v_pk_add_f32 v[188:189], v[4:5], v[34:35]
	;; [unrolled: 1-line block ×3, first 2 shown]
	ds_read2_b64 v[242:245], v36 offset0:110 offset1:165
	ds_read2_b64 v[4:7], v121 offset0:114 offset1:169
	;; [unrolled: 1-line block ×6, first 2 shown]
	v_pk_add_f32 v[2:3], v[2:3], v[42:43]
	v_pk_add_f32 v[248:249], v[30:31], v[42:43] neg_lo:[0,1] neg_hi:[0,1]
	v_pk_add_f32 v[2:3], v[2:3], v[30:31]
	ds_write2_b64 v36, v[2:3], v[188:189] offset1:55
	global_load_dwordx4 v[204:207], v11, s[10:11] offset:3024
	global_load_dwordx4 v[196:199], v11, s[10:11] offset:3040
	v_mov_b32_e32 v2, v195
	s_waitcnt lgkmcnt(3)
	v_pk_mul_f32 v[2:3], v[180:181], v[2:3] op_sel_hi:[1,0]
	ds_read2_b64 v[10:13], v103 offset0:148 offset1:203
	v_pk_fma_f32 v[228:229], v[180:181], v[194:195], v[2:3] op_sel:[0,0,1] op_sel_hi:[1,1,0] neg_lo:[0,0,1] neg_hi:[0,0,1]
	v_pk_fma_f32 v[44:45], v[180:181], v[194:195], v[2:3] op_sel:[0,0,1] op_sel_hi:[1,0,0]
	v_pk_add_f32 v[48:49], v[40:41], v[30:31] neg_lo:[0,1] neg_hi:[0,1]
	v_pk_add_f32 v[62:63], v[24:25], v[42:43] neg_lo:[0,1] neg_hi:[0,1]
	v_pk_mul_f32 v[50:51], v[48:49], s[12:13] op_sel_hi:[1,0]
	v_mov_b32_e32 v229, v45
	s_waitcnt vmcnt(1)
	v_mov_b32_e32 v2, v207
	v_pk_mul_f32 v[2:3], v[182:183], v[2:3] op_sel_hi:[1,0]
	v_accvgpr_write_b32 a226, v207
	v_pk_fma_f32 v[214:215], v[182:183], v[206:207], v[2:3] op_sel:[0,0,1] op_sel_hi:[1,1,0] neg_lo:[0,0,1] neg_hi:[0,0,1]
	v_pk_fma_f32 v[236:237], v[182:183], v[206:207], v[2:3] op_sel:[0,0,1] op_sel_hi:[1,0,0]
	global_load_dwordx4 v[188:191], v15, s[10:11] offset:3024
	global_load_dwordx4 v[180:183], v15, s[10:11] offset:3040
	ds_read2_b64 v[230:233], v79 offset0:150 offset1:205
	s_waitcnt lgkmcnt(1)
	v_pk_mul_f32 v[2:3], v[10:11], v[204:205] op_sel:[0,1]
	v_mov_b32_e32 v15, v133
	v_pk_fma_f32 v[216:217], v[10:11], v[204:205], v[2:3] op_sel:[0,0,1] op_sel_hi:[1,1,0] neg_lo:[0,0,1] neg_hi:[0,0,1]
	v_pk_fma_f32 v[240:241], v[10:11], v[204:205], v[2:3] op_sel:[0,0,1] op_sel_hi:[1,0,0]
	s_waitcnt vmcnt(2) lgkmcnt(0)
	v_pk_mul_f32 v[226:227], v[230:231], v[196:197] op_sel:[0,1]
	v_mov_b32_e32 v217, v241
	v_pk_fma_f32 v[46:47], v[230:231], v[196:197], v[226:227] op_sel:[0,0,1] op_sel_hi:[1,0,0]
	v_mov_b32_e32 v215, v237
	s_mov_b32 s10, s17
	s_mov_b32 s11, s16
	v_accvgpr_read_b32 v134, a128
	v_accvgpr_write_b32 a232, v199
	v_accvgpr_read_b32 v133, a127
	v_accvgpr_read_b32 v132, a126
	v_mov_b32_e32 v135, v134
	v_accvgpr_write_b32 a126, v108
	v_accvgpr_write_b32 a128, v110
	s_waitcnt vmcnt(1)
	v_pk_mul_f32 v[10:11], v[12:13], v[188:189] op_sel:[0,1]
	s_nop 0
	v_pk_fma_f32 v[2:3], v[12:13], v[188:189], v[10:11] op_sel:[0,0,1] op_sel_hi:[1,1,0] neg_lo:[0,0,1] neg_hi:[0,0,1]
	v_pk_fma_f32 v[218:219], v[12:13], v[188:189], v[10:11] op_sel:[0,0,1] op_sel_hi:[1,0,0]
	v_mov_b32_e32 v10, v191
	v_pk_mul_f32 v[12:13], v[220:221], v[10:11] op_sel_hi:[1,0]
	v_mov_b32_e32 v3, v219
	v_pk_fma_f32 v[10:11], v[220:221], v[190:191], v[12:13] op_sel:[0,0,1] op_sel_hi:[1,1,0] neg_lo:[0,0,1] neg_hi:[0,0,1]
	v_pk_fma_f32 v[222:223], v[220:221], v[190:191], v[12:13] op_sel:[0,0,1] op_sel_hi:[1,0,0]
	s_waitcnt vmcnt(0)
	v_pk_mul_f32 v[220:221], v[232:233], v[180:181] op_sel:[0,1]
	v_mov_b32_e32 v11, v223
	v_pk_fma_f32 v[12:13], v[232:233], v[180:181], v[220:221] op_sel:[0,0,1] op_sel_hi:[1,1,0] neg_lo:[0,0,1] neg_hi:[0,0,1]
	v_pk_fma_f32 v[224:225], v[232:233], v[180:181], v[220:221] op_sel:[0,0,1] op_sel_hi:[1,0,0]
	v_pk_fma_f32 v[220:221], v[230:231], v[196:197], v[226:227] op_sel:[0,0,1] op_sel_hi:[1,1,0] neg_lo:[0,0,1] neg_hi:[0,0,1]
	v_pk_mul_f32 v[226:227], v[56:57], v[26:27] op_sel_hi:[1,0]
	v_mov_b32_e32 v26, v199
	v_pk_mul_f32 v[230:231], v[58:59], v[26:27] op_sel_hi:[1,0]
	v_pk_fma_f32 v[232:233], v[56:57], v[186:187], v[226:227] op_sel:[0,0,1] op_sel_hi:[1,1,0] neg_lo:[0,0,1] neg_hi:[0,0,1]
	v_pk_fma_f32 v[56:57], v[56:57], v[186:187], v[226:227] op_sel:[0,0,1] op_sel_hi:[1,0,0]
	v_pk_fma_f32 v[226:227], v[58:59], v[198:199], v[230:231] op_sel:[0,0,1] op_sel_hi:[1,1,0] neg_lo:[0,0,1] neg_hi:[0,0,1]
	v_pk_fma_f32 v[58:59], v[58:59], v[198:199], v[230:231] op_sel:[0,0,1] op_sel_hi:[1,0,0]
	v_pk_add_f32 v[230:231], v[40:41], v[24:25] neg_lo:[0,1] neg_hi:[0,1]
	v_mov_b32_e32 v26, v163
	v_pk_add_f32 v[248:249], v[230:231], v[248:249]
	v_pk_add_f32 v[230:231], v[24:25], v[42:43]
	v_pk_add_f32 v[24:25], v[24:25], v[40:41] neg_lo:[0,1] neg_hi:[0,1]
	v_pk_fma_f32 v[230:231], v[230:231], 0.5, v[250:251] op_sel_hi:[1,0,1] neg_lo:[1,0,0] neg_hi:[1,0,0]
	v_mov_b32_e32 v233, v57
	v_pk_add_f32 v[60:61], v[230:231], v[50:51] op_sel:[0,1] op_sel_hi:[1,0]
	v_pk_add_f32 v[50:51], v[230:231], v[50:51] op_sel:[0,1] op_sel_hi:[1,0] neg_lo:[0,1] neg_hi:[0,1]
	v_pk_mul_f32 v[230:231], v[62:63], s[14:15] op_sel_hi:[1,0]
	v_mov_b32_e32 v221, v47
	v_pk_add_f32 v[50:51], v[50:51], v[230:231] op_sel:[0,1] op_sel_hi:[1,0] neg_lo:[0,1] neg_hi:[0,1]
	v_pk_add_f32 v[60:61], v[60:61], v[230:231] op_sel:[0,1] op_sel_hi:[1,0]
	v_pk_add_f32 v[230:231], v[208:209], v[28:29] neg_lo:[0,1] neg_hi:[0,1]
	v_mov_b32_e32 v227, v59
	v_pk_add_f32 v[32:33], v[230:231], v[32:33]
	v_pk_add_f32 v[230:231], v[28:29], v[210:211]
	v_pk_add_f32 v[28:29], v[28:29], v[208:209] neg_lo:[0,1] neg_hi:[0,1]
	v_pk_fma_f32 v[230:231], v[230:231], 0.5, v[252:253] op_sel_hi:[1,0,1] neg_lo:[1,0,0] neg_hi:[1,0,0]
	v_mov_b32_e32 v13, v225
	v_pk_add_f32 v[68:69], v[230:231], v[66:67] op_sel:[0,1] op_sel_hi:[1,0]
	v_pk_add_f32 v[66:67], v[230:231], v[66:67] op_sel:[0,1] op_sel_hi:[1,0] neg_lo:[0,1] neg_hi:[0,1]
	v_pk_mul_f32 v[230:231], v[70:71], s[14:15] op_sel_hi:[1,0]
	v_accvgpr_write_b32 a224, v191
	v_pk_add_f32 v[66:67], v[66:67], v[230:231] op_sel:[0,1] op_sel_hi:[1,0] neg_lo:[0,1] neg_hi:[0,1]
	v_pk_add_f32 v[68:69], v[68:69], v[230:231] op_sel:[0,1] op_sel_hi:[1,0]
	v_mov_b32_e32 v230, v60
	v_mov_b32_e32 v231, v51
	v_pk_fma_f32 v[72:73], v[248:249], s[8:9], v[230:231] op_sel_hi:[1,0,1]
	v_mov_b32_e32 v230, v68
	v_mov_b32_e32 v231, v67
	v_pk_fma_f32 v[74:75], v[32:33], s[8:9], v[230:231] op_sel_hi:[1,0,1]
	ds_read_b64 v[230:231], v36 offset:14960
	ds_write2_b64 v123, v[72:73], v[74:75] offset0:129 offset1:184
	v_pk_add_f32 v[72:73], v[40:41], v[30:31]
	v_pk_add_f32 v[30:31], v[42:43], v[30:31] neg_lo:[0,1] neg_hi:[0,1]
	v_pk_fma_f32 v[72:73], v[72:73], 0.5, v[250:251] op_sel_hi:[1,0,1] neg_lo:[1,0,0] neg_hi:[1,0,0]
	v_pk_add_f32 v[74:75], v[208:209], v[34:35]
	v_pk_add_f32 v[24:25], v[24:25], v[30:31]
	v_pk_mul_f32 v[30:31], v[62:63], s[12:13] op_sel_hi:[1,0]
	v_pk_add_f32 v[34:35], v[210:211], v[34:35] neg_lo:[0,1] neg_hi:[0,1]
	v_pk_fma_f32 v[74:75], v[74:75], 0.5, v[252:253] op_sel_hi:[1,0,1] neg_lo:[1,0,0] neg_hi:[1,0,0]
	v_pk_add_f32 v[40:41], v[72:73], v[30:31] op_sel:[0,1] op_sel_hi:[1,0] neg_lo:[0,1] neg_hi:[0,1]
	v_pk_add_f32 v[30:31], v[72:73], v[30:31] op_sel:[0,1] op_sel_hi:[1,0]
	v_pk_mul_f32 v[42:43], v[48:49], s[14:15] op_sel_hi:[1,0]
	v_pk_add_f32 v[28:29], v[28:29], v[34:35]
	v_pk_mul_f32 v[34:35], v[70:71], s[12:13] op_sel_hi:[1,0]
	v_pk_add_f32 v[30:31], v[30:31], v[42:43] op_sel:[0,1] op_sel_hi:[1,0] neg_lo:[0,1] neg_hi:[0,1]
	v_pk_add_f32 v[40:41], v[40:41], v[42:43] op_sel:[0,1] op_sel_hi:[1,0]
	v_pk_add_f32 v[42:43], v[74:75], v[34:35] op_sel:[0,1] op_sel_hi:[1,0] neg_lo:[0,1] neg_hi:[0,1]
	v_pk_add_f32 v[34:35], v[74:75], v[34:35] op_sel:[0,1] op_sel_hi:[1,0]
	v_pk_mul_f32 v[48:49], v[64:65], s[14:15] op_sel_hi:[1,0]
	v_mov_b32_e32 v51, v61
	v_pk_add_f32 v[34:35], v[34:35], v[48:49] op_sel:[0,1] op_sel_hi:[1,0] neg_lo:[0,1] neg_hi:[0,1]
	v_pk_add_f32 v[42:43], v[42:43], v[48:49] op_sel:[0,1] op_sel_hi:[1,0]
	v_mov_b32_e32 v48, v40
	v_mov_b32_e32 v49, v31
	;; [unrolled: 1-line block ×4, first 2 shown]
	v_pk_fma_f32 v[48:49], v[24:25], s[8:9], v[48:49] op_sel_hi:[1,0,1]
	v_pk_fma_f32 v[62:63], v[28:29], s[8:9], v[62:63] op_sel_hi:[1,0,1]
	ds_write2_b64 v37, v[48:49], v[62:63] offset0:2 offset1:57
	v_pk_mul_f32 v[48:49], v[54:55], v[184:185] op_sel:[0,1]
	v_mov_b32_e32 v31, v41
	v_pk_fma_f32 v[62:63], v[54:55], v[184:185], v[48:49] op_sel:[0,0,1] op_sel_hi:[1,1,0] neg_lo:[0,0,1] neg_hi:[0,0,1]
	v_pk_fma_f32 v[48:49], v[54:55], v[184:185], v[48:49] op_sel:[0,0,1] op_sel_hi:[1,0,0]
	v_pk_mul_f32 v[54:55], v[52:53], v[200:201] op_sel:[0,1]
	v_mov_b32_e32 v35, v43
	v_pk_fma_f32 v[64:65], v[52:53], v[200:201], v[54:55] op_sel:[0,0,1] op_sel_hi:[1,1,0] neg_lo:[0,0,1] neg_hi:[0,0,1]
	v_pk_fma_f32 v[52:53], v[52:53], v[200:201], v[54:55] op_sel:[0,0,1] op_sel_hi:[1,0,0]
	v_pk_mul_f32 v[54:55], v[4:5], v[26:27] op_sel_hi:[1,0]
	v_pk_fma_f32 v[24:25], v[24:25], s[8:9], v[30:31] op_sel_hi:[1,0,1]
	v_pk_fma_f32 v[70:71], v[4:5], v[162:163], v[54:55] op_sel:[0,0,1] op_sel_hi:[1,1,0] neg_lo:[0,0,1] neg_hi:[0,0,1]
	v_pk_fma_f32 v[4:5], v[4:5], v[162:163], v[54:55] op_sel:[0,0,1] op_sel_hi:[1,0,0]
	v_pk_fma_f32 v[28:29], v[28:29], s[8:9], v[34:35] op_sel_hi:[1,0,1]
	v_mov_b32_e32 v4, v203
	v_pk_mul_f32 v[54:55], v[6:7], v[4:5] op_sel_hi:[1,0]
	v_mov_b32_e32 v67, v69
	v_pk_fma_f32 v[72:73], v[6:7], v[202:203], v[54:55] op_sel:[0,0,1] op_sel_hi:[1,1,0] neg_lo:[0,0,1] neg_hi:[0,0,1]
	v_pk_fma_f32 v[6:7], v[6:7], v[202:203], v[54:55] op_sel:[0,0,1] op_sel_hi:[1,0,0]
	v_mov_b32_e32 v71, v5
	ds_write2_b64 v125, v[24:25], v[28:29] offset0:131 offset1:186
	v_pk_fma_f32 v[24:25], v[248:249], s[8:9], v[50:51] op_sel_hi:[1,0,1]
	v_pk_fma_f32 v[28:29], v[32:33], s[8:9], v[66:67] op_sel_hi:[1,0,1]
	v_mov_b32_e32 v73, v7
	v_pk_add_f32 v[4:5], v[14:15], v[18:19] neg_lo:[0,1] neg_hi:[0,1]
	v_pk_add_f32 v[6:7], v[70:71], v[16:17] neg_lo:[0,1] neg_hi:[0,1]
	ds_write2_b64 v121, v[24:25], v[28:29] offset0:4 offset1:59
	v_pk_add_f32 v[4:5], v[4:5], v[6:7]
	v_pk_add_f32 v[6:7], v[18:19], v[16:17]
	v_pk_add_f32 v[24:25], v[14:15], v[70:71] neg_lo:[0,1] neg_hi:[0,1]
	v_pk_fma_f32 v[6:7], v[6:7], 0.5, v[242:243] op_sel_hi:[1,0,1] neg_lo:[1,0,0] neg_hi:[1,0,0]
	v_pk_mul_f32 v[28:29], v[24:25], s[12:13] op_sel_hi:[1,0]
	v_mov_b32_e32 v65, v53
	v_pk_add_f32 v[30:31], v[6:7], v[28:29] op_sel:[0,1] op_sel_hi:[1,0]
	v_pk_add_f32 v[6:7], v[6:7], v[28:29] op_sel:[0,1] op_sel_hi:[1,0] neg_lo:[0,1] neg_hi:[0,1]
	v_pk_add_f32 v[28:29], v[18:19], v[16:17] neg_lo:[0,1] neg_hi:[0,1]
	v_mov_b32_e32 v63, v49
	v_pk_mul_f32 v[32:33], v[28:29], s[14:15] op_sel_hi:[1,0]
	v_accvgpr_write_b32 a254, v183
	v_pk_add_f32 v[6:7], v[6:7], v[32:33] op_sel:[0,1] op_sel_hi:[1,0] neg_lo:[0,1] neg_hi:[0,1]
	v_pk_add_f32 v[30:31], v[30:31], v[32:33] op_sel:[0,1] op_sel_hi:[1,0]
	v_mov_b32_e32 v33, v7
	v_mov_b32_e32 v32, v30
	v_pk_fma_f32 v[32:33], v[4:5], s[8:9], v[32:33] op_sel_hi:[1,0,1]
	ds_write_b64 v36, v[32:33] offset:3960
	v_pk_add_f32 v[32:33], v[242:243], v[14:15]
	v_mov_b32_e32 v7, v31
	v_pk_add_f32 v[32:33], v[32:33], v[18:19]
	v_pk_add_f32 v[18:19], v[18:19], v[14:15] neg_lo:[0,1] neg_hi:[0,1]
	v_pk_add_f32 v[32:33], v[32:33], v[16:17]
	v_pk_add_f32 v[14:15], v[14:15], v[70:71]
	v_pk_add_f32 v[16:17], v[16:17], v[70:71] neg_lo:[0,1] neg_hi:[0,1]
	v_pk_fma_f32 v[14:15], v[14:15], 0.5, v[242:243] op_sel_hi:[1,0,1] neg_lo:[1,0,0] neg_hi:[1,0,0]
	v_pk_add_f32 v[16:17], v[18:19], v[16:17]
	v_pk_mul_f32 v[18:19], v[28:29], s[12:13] op_sel_hi:[1,0]
	v_pk_fma_f32 v[4:5], v[4:5], s[8:9], v[6:7] op_sel_hi:[1,0,1]
	v_pk_add_f32 v[28:29], v[14:15], v[18:19] op_sel:[0,1] op_sel_hi:[1,0] neg_lo:[0,1] neg_hi:[0,1]
	v_pk_add_f32 v[14:15], v[14:15], v[18:19] op_sel:[0,1] op_sel_hi:[1,0]
	v_pk_mul_f32 v[18:19], v[24:25], s[14:15] op_sel_hi:[1,0]
	ds_write_b64 v36, v[4:5] offset:13200
	v_pk_add_f32 v[14:15], v[14:15], v[18:19] op_sel:[0,1] op_sel_hi:[1,0] neg_lo:[0,1] neg_hi:[0,1]
	v_pk_add_f32 v[18:19], v[28:29], v[18:19] op_sel:[0,1] op_sel_hi:[1,0]
	v_pk_add_f32 v[4:5], v[244:245], v[238:239]
	v_mov_b32_e32 v25, v15
	v_mov_b32_e32 v15, v19
	v_pk_add_f32 v[4:5], v[4:5], v[234:235]
	v_mov_b32_e32 v24, v18
	v_pk_fma_f32 v[14:15], v[16:17], s[8:9], v[14:15] op_sel_hi:[1,0,1]
	v_pk_add_f32 v[4:5], v[4:5], v[64:65]
	v_pk_add_f32 v[32:33], v[32:33], v[70:71]
	v_pk_fma_f32 v[24:25], v[16:17], s[8:9], v[24:25] op_sel_hi:[1,0,1]
	ds_write_b64 v36, v[14:15] offset:10120
	v_pk_add_f32 v[4:5], v[4:5], v[72:73]
	v_pk_add_f32 v[14:15], v[238:239], v[234:235] neg_lo:[0,1] neg_hi:[0,1]
	v_pk_add_f32 v[16:17], v[72:73], v[64:65] neg_lo:[0,1] neg_hi:[0,1]
	ds_write_b64 v36, v[24:25] offset:7040
	ds_write2_b64 v36, v[32:33], v[4:5] offset0:110 offset1:165
	v_pk_add_f32 v[4:5], v[234:235], v[64:65]
	v_pk_add_f32 v[14:15], v[14:15], v[16:17]
	v_pk_add_f32 v[16:17], v[238:239], v[72:73] neg_lo:[0,1] neg_hi:[0,1]
	v_pk_fma_f32 v[4:5], v[4:5], 0.5, v[244:245] op_sel_hi:[1,0,1] neg_lo:[1,0,0] neg_hi:[1,0,0]
	v_pk_mul_f32 v[18:19], v[16:17], s[12:13] op_sel_hi:[1,0]
	v_pk_add_f32 v[6:7], v[238:239], v[72:73]
	v_pk_add_f32 v[24:25], v[4:5], v[18:19] op_sel:[0,1] op_sel_hi:[1,0]
	v_pk_add_f32 v[4:5], v[4:5], v[18:19] op_sel:[0,1] op_sel_hi:[1,0] neg_lo:[0,1] neg_hi:[0,1]
	v_pk_add_f32 v[18:19], v[234:235], v[64:65] neg_lo:[0,1] neg_hi:[0,1]
	v_pk_fma_f32 v[6:7], v[6:7], 0.5, v[244:245] op_sel_hi:[1,0,1] neg_lo:[1,0,0] neg_hi:[1,0,0]
	v_pk_mul_f32 v[26:27], v[18:19], s[14:15] op_sel_hi:[1,0]
	v_pk_add_f32 v[28:29], v[64:65], v[72:73] neg_lo:[0,1] neg_hi:[0,1]
	v_pk_add_f32 v[4:5], v[4:5], v[26:27] op_sel:[0,1] op_sel_hi:[1,0] neg_lo:[0,1] neg_hi:[0,1]
	v_pk_add_f32 v[24:25], v[24:25], v[26:27] op_sel:[0,1] op_sel_hi:[1,0]
	v_pk_add_f32 v[26:27], v[234:235], v[238:239] neg_lo:[0,1] neg_hi:[0,1]
	v_pk_mul_f32 v[18:19], v[18:19], s[12:13] op_sel_hi:[1,0]
	v_pk_add_f32 v[26:27], v[26:27], v[28:29]
	v_pk_add_f32 v[28:29], v[6:7], v[18:19] op_sel:[0,1] op_sel_hi:[1,0] neg_lo:[0,1] neg_hi:[0,1]
	v_pk_add_f32 v[6:7], v[6:7], v[18:19] op_sel:[0,1] op_sel_hi:[1,0]
	v_pk_mul_f32 v[16:17], v[16:17], s[14:15] op_sel_hi:[1,0]
	s_nop 0
	v_pk_add_f32 v[6:7], v[6:7], v[16:17] op_sel:[0,1] op_sel_hi:[1,0] neg_lo:[0,1] neg_hi:[0,1]
	v_pk_add_f32 v[16:17], v[28:29], v[16:17] op_sel:[0,1] op_sel_hi:[1,0]
	v_mov_b32_e32 v19, v7
	v_mov_b32_e32 v7, v17
	v_pk_fma_f32 v[6:7], v[26:27], s[8:9], v[6:7] op_sel_hi:[1,0,1]
	ds_write_b64 v36, v[6:7] offset:10560
	v_mov_b32_e32 v7, v5
	v_mov_b32_e32 v5, v25
	;; [unrolled: 1-line block ×3, first 2 shown]
	v_pk_fma_f32 v[4:5], v[14:15], s[8:9], v[4:5] op_sel_hi:[1,0,1]
	v_mov_b32_e32 v18, v16
	v_pk_fma_f32 v[6:7], v[14:15], s[8:9], v[6:7] op_sel_hi:[1,0,1]
	ds_write_b64 v36, v[4:5] offset:13640
	v_pk_add_f32 v[4:5], v[212:213], v[228:229] neg_lo:[0,1] neg_hi:[0,1]
	v_pk_add_f32 v[14:15], v[232:233], v[62:63] neg_lo:[0,1] neg_hi:[0,1]
	v_pk_fma_f32 v[18:19], v[26:27], s[8:9], v[18:19] op_sel_hi:[1,0,1]
	v_pk_add_f32 v[4:5], v[4:5], v[14:15]
	v_pk_add_f32 v[14:15], v[228:229], v[62:63]
	v_pk_add_f32 v[16:17], v[212:213], v[232:233] neg_lo:[0,1] neg_hi:[0,1]
	ds_write_b64 v36, v[18:19] offset:7480
	v_pk_fma_f32 v[14:15], v[14:15], 0.5, v[20:21] op_sel_hi:[1,0,1] neg_lo:[1,0,0] neg_hi:[1,0,0]
	v_pk_mul_f32 v[18:19], v[16:17], s[12:13] op_sel_hi:[1,0]
	v_pk_add_f32 v[28:29], v[62:63], v[232:233] neg_lo:[0,1] neg_hi:[0,1]
	v_pk_add_f32 v[24:25], v[14:15], v[18:19] op_sel:[0,1] op_sel_hi:[1,0]
	v_pk_add_f32 v[14:15], v[14:15], v[18:19] op_sel:[0,1] op_sel_hi:[1,0] neg_lo:[0,1] neg_hi:[0,1]
	v_pk_add_f32 v[18:19], v[228:229], v[62:63] neg_lo:[0,1] neg_hi:[0,1]
	v_pk_mul_f32 v[16:17], v[16:17], s[14:15] op_sel_hi:[1,0]
	v_pk_mul_f32 v[26:27], v[18:19], s[14:15] op_sel_hi:[1,0]
	v_pk_mul_f32 v[18:19], v[18:19], s[12:13] op_sel_hi:[1,0]
	v_pk_add_f32 v[14:15], v[14:15], v[26:27] op_sel:[0,1] op_sel_hi:[1,0] neg_lo:[0,1] neg_hi:[0,1]
	v_pk_add_f32 v[24:25], v[24:25], v[26:27] op_sel:[0,1] op_sel_hi:[1,0]
	v_mov_b32_e32 v27, v15
	v_mov_b32_e32 v26, v24
	v_pk_fma_f32 v[26:27], v[4:5], s[8:9], v[26:27] op_sel_hi:[1,0,1]
	ds_write2_b64 v103, v[6:7], v[26:27] offset0:38 offset1:93
	v_pk_add_f32 v[6:7], v[20:21], v[212:213]
	v_pk_add_f32 v[26:27], v[22:23], v[216:217]
	;; [unrolled: 1-line block ×8, first 2 shown]
	ds_write2_b64 v115, v[6:7], v[26:27] offset0:92 offset1:147
	v_pk_add_f32 v[6:7], v[212:213], v[232:233]
	v_pk_add_f32 v[26:27], v[216:217], v[226:227]
	v_pk_fma_f32 v[6:7], v[6:7], 0.5, v[20:21] op_sel_hi:[1,0,1] neg_lo:[1,0,0] neg_hi:[1,0,0]
	v_pk_add_f32 v[20:21], v[214:215], v[220:221]
	v_mov_b32_e32 v15, v25
	v_pk_fma_f32 v[20:21], v[20:21], 0.5, v[22:23] op_sel_hi:[1,0,1] neg_lo:[1,0,0] neg_hi:[1,0,0]
	v_pk_fma_f32 v[22:23], v[26:27], 0.5, v[22:23] op_sel_hi:[1,0,1] neg_lo:[1,0,0] neg_hi:[1,0,0]
	v_pk_add_f32 v[26:27], v[228:229], v[212:213] neg_lo:[0,1] neg_hi:[0,1]
	v_pk_fma_f32 v[4:5], v[4:5], s[8:9], v[14:15] op_sel_hi:[1,0,1]
	v_pk_add_f32 v[26:27], v[26:27], v[28:29]
	v_pk_add_f32 v[28:29], v[6:7], v[18:19] op_sel:[0,1] op_sel_hi:[1,0] neg_lo:[0,1] neg_hi:[0,1]
	v_pk_add_f32 v[6:7], v[6:7], v[18:19] op_sel:[0,1] op_sel_hi:[1,0]
	ds_write_b64 v36, v[4:5] offset:14080
	v_pk_add_f32 v[6:7], v[6:7], v[16:17] op_sel:[0,1] op_sel_hi:[1,0] neg_lo:[0,1] neg_hi:[0,1]
	v_pk_add_f32 v[16:17], v[28:29], v[16:17] op_sel:[0,1] op_sel_hi:[1,0]
	v_mov_b32_e32 v19, v7
	v_mov_b32_e32 v7, v17
	v_pk_fma_f32 v[6:7], v[26:27], s[8:9], v[6:7] op_sel_hi:[1,0,1]
	ds_write_b64 v36, v[6:7] offset:11000
	v_pk_add_f32 v[4:5], v[214:215], v[216:217] neg_lo:[0,1] neg_hi:[0,1]
	v_pk_add_f32 v[6:7], v[220:221], v[226:227] neg_lo:[0,1] neg_hi:[0,1]
	v_mov_b32_e32 v18, v16
	v_pk_add_f32 v[4:5], v[4:5], v[6:7]
	v_pk_add_f32 v[6:7], v[214:215], v[220:221] neg_lo:[0,1] neg_hi:[0,1]
	v_pk_fma_f32 v[16:17], v[26:27], s[8:9], v[18:19] op_sel_hi:[1,0,1]
	v_pk_mul_f32 v[14:15], v[6:7], s[12:13] op_sel_hi:[1,0]
	v_pk_add_f32 v[26:27], v[226:227], v[220:221] neg_lo:[0,1] neg_hi:[0,1]
	v_pk_add_f32 v[18:19], v[22:23], v[14:15] op_sel:[0,1] op_sel_hi:[1,0] neg_lo:[0,1] neg_hi:[0,1]
	v_pk_add_f32 v[14:15], v[22:23], v[14:15] op_sel:[0,1] op_sel_hi:[1,0]
	v_pk_add_f32 v[22:23], v[216:217], v[226:227] neg_lo:[0,1] neg_hi:[0,1]
	v_pk_mul_f32 v[6:7], v[6:7], s[14:15] op_sel_hi:[1,0]
	v_pk_mul_f32 v[24:25], v[22:23], s[14:15] op_sel_hi:[1,0]
	;; [unrolled: 1-line block ×3, first 2 shown]
	v_pk_add_f32 v[14:15], v[14:15], v[24:25] op_sel:[0,1] op_sel_hi:[1,0] neg_lo:[0,1] neg_hi:[0,1]
	v_pk_add_f32 v[18:19], v[18:19], v[24:25] op_sel:[0,1] op_sel_hi:[1,0]
	v_mov_b32_e32 v25, v15
	v_mov_b32_e32 v24, v18
	v_pk_fma_f32 v[24:25], v[4:5], s[8:9], v[24:25] op_sel_hi:[1,0,1]
	ds_write2_b64 v111, v[16:17], v[24:25] offset0:94 offset1:149
	v_mov_b32_e32 v16, v183
	s_waitcnt lgkmcnt(14)
	v_pk_mul_f32 v[16:17], v[230:231], v[16:17] op_sel_hi:[1,0]
	v_mov_b32_e32 v15, v19
	v_pk_fma_f32 v[24:25], v[230:231], v[182:183], v[16:17] op_sel:[0,0,1] op_sel_hi:[1,1,0] neg_lo:[0,0,1] neg_hi:[0,0,1]
	v_pk_fma_f32 v[16:17], v[230:231], v[182:183], v[16:17] op_sel:[0,0,1] op_sel_hi:[1,0,0]
	v_pk_fma_f32 v[4:5], v[4:5], s[8:9], v[14:15] op_sel_hi:[1,0,1]
	v_mov_b32_e32 v25, v17
	v_pk_add_f32 v[16:17], v[216:217], v[214:215] neg_lo:[0,1] neg_hi:[0,1]
	ds_write_b64 v36, v[4:5] offset:11440
	v_pk_add_f32 v[16:17], v[16:17], v[26:27]
	v_pk_add_f32 v[26:27], v[20:21], v[22:23] op_sel:[0,1] op_sel_hi:[1,0]
	v_pk_add_f32 v[20:21], v[20:21], v[22:23] op_sel:[0,1] op_sel_hi:[1,0] neg_lo:[0,1] neg_hi:[0,1]
	v_pk_add_f32 v[14:15], v[24:25], v[12:13] neg_lo:[0,1] neg_hi:[0,1]
	v_pk_add_f32 v[20:21], v[20:21], v[6:7] op_sel:[0,1] op_sel_hi:[1,0] neg_lo:[0,1] neg_hi:[0,1]
	v_pk_add_f32 v[6:7], v[26:27], v[6:7] op_sel:[0,1] op_sel_hi:[1,0]
	v_mov_b32_e32 v5, v21
	v_mov_b32_e32 v21, v7
	;; [unrolled: 1-line block ×3, first 2 shown]
	v_pk_fma_f32 v[6:7], v[16:17], s[8:9], v[20:21] op_sel_hi:[1,0,1]
	ds_write_b64 v36, v[6:7] offset:14520
	v_pk_add_f32 v[6:7], v[0:1], v[2:3]
	v_pk_fma_f32 v[4:5], v[16:17], s[8:9], v[4:5] op_sel_hi:[1,0,1]
	v_pk_add_f32 v[6:7], v[6:7], v[10:11]
	v_pk_add_f32 v[16:17], v[2:3], v[24:25] neg_lo:[0,1] neg_hi:[0,1]
	v_pk_add_f32 v[6:7], v[6:7], v[12:13]
	v_pk_mul_f32 v[18:19], v[16:17], s[12:13] op_sel_hi:[1,0]
	v_pk_add_f32 v[6:7], v[6:7], v[24:25]
	ds_write_b64 v36, v[6:7] offset:2640
	v_pk_add_f32 v[6:7], v[2:3], v[10:11] neg_lo:[0,1] neg_hi:[0,1]
	s_nop 0
	v_pk_add_f32 v[6:7], v[6:7], v[14:15]
	v_pk_add_f32 v[14:15], v[10:11], v[12:13]
	s_nop 0
	v_pk_fma_f32 v[14:15], v[14:15], 0.5, v[0:1] op_sel_hi:[1,0,1] neg_lo:[1,0,0] neg_hi:[1,0,0]
	s_nop 0
	v_pk_add_f32 v[20:21], v[14:15], v[18:19] op_sel:[0,1] op_sel_hi:[1,0]
	v_pk_add_f32 v[14:15], v[14:15], v[18:19] op_sel:[0,1] op_sel_hi:[1,0] neg_lo:[0,1] neg_hi:[0,1]
	v_pk_add_f32 v[18:19], v[10:11], v[12:13] neg_lo:[0,1] neg_hi:[0,1]
	s_nop 0
	v_pk_mul_f32 v[22:23], v[18:19], s[14:15] op_sel_hi:[1,0]
	s_nop 0
	v_pk_add_f32 v[14:15], v[14:15], v[22:23] op_sel:[0,1] op_sel_hi:[1,0] neg_lo:[0,1] neg_hi:[0,1]
	v_pk_add_f32 v[20:21], v[20:21], v[22:23] op_sel:[0,1] op_sel_hi:[1,0]
	v_mov_b32_e32 v23, v15
	v_mov_b32_e32 v22, v20
	v_pk_fma_f32 v[22:23], v[6:7], s[8:9], v[22:23] op_sel_hi:[1,0,1]
	ds_write2_b64 v103, v[4:5], v[22:23] offset0:148 offset1:203
	v_pk_add_f32 v[4:5], v[2:3], v[24:25]
	v_pk_add_f32 v[2:3], v[10:11], v[2:3] neg_lo:[0,1] neg_hi:[0,1]
	v_pk_fma_f32 v[0:1], v[4:5], 0.5, v[0:1] op_sel_hi:[1,0,1] neg_lo:[1,0,0] neg_hi:[1,0,0]
	v_pk_add_f32 v[4:5], v[12:13], v[24:25] neg_lo:[0,1] neg_hi:[0,1]
	v_mov_b32_e32 v15, v21
	v_pk_add_f32 v[2:3], v[2:3], v[4:5]
	v_pk_mul_f32 v[4:5], v[18:19], s[12:13] op_sel_hi:[1,0]
	s_mov_b32 s12, 0x3f3bfb3b
	v_pk_add_f32 v[10:11], v[0:1], v[4:5] op_sel:[0,1] op_sel_hi:[1,0] neg_lo:[0,1] neg_hi:[0,1]
	v_pk_add_f32 v[0:1], v[0:1], v[4:5] op_sel:[0,1] op_sel_hi:[1,0]
	v_pk_mul_f32 v[4:5], v[16:17], s[14:15] op_sel_hi:[1,0]
	s_mov_b32 s14, 0xbf5ff5aa
	v_pk_add_f32 v[0:1], v[0:1], v[4:5] op_sel:[0,1] op_sel_hi:[1,0] neg_lo:[0,1] neg_hi:[0,1]
	v_pk_add_f32 v[4:5], v[10:11], v[4:5] op_sel:[0,1] op_sel_hi:[1,0]
	v_mov_b32_e32 v11, v1
	v_mov_b32_e32 v1, v5
	v_pk_fma_f32 v[0:1], v[2:3], s[8:9], v[0:1] op_sel_hi:[1,0,1]
	ds_write_b64 v36, v[0:1] offset:11880
	v_pk_fma_f32 v[0:1], v[6:7], s[8:9], v[14:15] op_sel_hi:[1,0,1]
	v_mov_b32_e32 v10, v4
	ds_write_b64 v36, v[0:1] offset:14960
	v_add_co_u32_e64 v0, s[0:1], s0, v8
	v_pk_fma_f32 v[10:11], v[2:3], s[8:9], v[10:11] op_sel_hi:[1,0,1]
	s_nop 0
	v_addc_co_u32_e64 v1, s[0:1], 0, v9, s[0:1]
	ds_write_b64 v36, v[10:11] offset:8800
	s_waitcnt lgkmcnt(0)
	; wave barrier
	s_waitcnt lgkmcnt(0)
	global_load_dwordx2 v[10:11], v[0:1], off offset:3112
	s_movk_i32 s0, 0x4000
	v_add_co_u32_e64 v0, s[0:1], s0, v8
	s_mov_b64 s[8:9], 0x3c28
	s_nop 0
	v_addc_co_u32_e64 v1, s[0:1], 0, v9, s[0:1]
	global_load_dwordx2 v[14:15], v[0:1], off offset:3416
	global_load_dwordx2 v[16:17], v[0:1], off offset:3856
	ds_read2_b64 v[4:7], v36 offset1:55
	v_lshl_add_u64 v[2:3], v[8:9], 0, s[8:9]
	global_load_dwordx2 v[0:1], v[2:3], off offset:3960
	s_movk_i32 s0, 0x5000
	v_add_co_u32_e64 v38, s[0:1], s0, v8
	s_mov_b32 s8, 0x3d64c772
	s_nop 0
	v_addc_co_u32_e64 v39, s[0:1], 0, v9, s[0:1]
	s_movk_i32 s0, 0x6000
	s_nop 0
	v_add_co_u32_e64 v20, s[0:1], s0, v8
	s_mov_b32 s9, 0x3f4a47b2
	s_nop 0
	v_addc_co_u32_e64 v21, s[0:1], 0, v9, s[0:1]
	s_movk_i32 s0, 0x7000
	s_nop 0
	v_add_co_u32_e64 v208, s[0:1], s0, v8
	s_mov_b32 s20, s9
	s_nop 0
	v_addc_co_u32_e64 v209, s[0:1], 0, v9, s[0:1]
	s_mov_b32 s0, 0xbee1c552
	s_mov_b32 s21, s8
	s_waitcnt vmcnt(3) lgkmcnt(0)
	v_mul_f32_e32 v12, v5, v11
	v_mul_f32_e32 v13, v4, v11
	v_fma_f32 v12, v4, v10, -v12
	v_fmac_f32_e32 v13, v5, v10
	global_load_dwordx2 v[4:5], v[2:3], off offset:440
	global_load_dwordx2 v[30:31], v[2:3], off offset:880
	;; [unrolled: 1-line block ×4, first 2 shown]
	ds_write_b64 v36, v[12:13]
	s_waitcnt vmcnt(3)
	v_mul_f32_e32 v10, v7, v5
	v_mul_f32_e32 v11, v6, v5
	v_fma_f32 v10, v6, v4, -v10
	v_fmac_f32_e32 v11, v7, v4
	ds_read2_b64 v[4:7], v103 offset0:38 offset1:93
	global_load_dwordx2 v[18:19], v[38:39], off offset:3720
	global_load_dwordx2 v[24:25], v[20:21], off offset:64
	;; [unrolled: 1-line block ×4, first 2 shown]
	s_waitcnt lgkmcnt(0)
	v_mul_f32_e32 v12, v5, v15
	v_fma_f32 v12, v4, v14, -v12
	v_mul_f32_e32 v13, v4, v15
	v_mul_f32_e32 v4, v7, v17
	;; [unrolled: 1-line block ×3, first 2 shown]
	v_fmac_f32_e32 v13, v5, v14
	v_fma_f32 v14, v6, v16, -v4
	v_fmac_f32_e32 v15, v7, v16
	ds_read2_b64 v[4:7], v125 offset0:76 offset1:131
	global_load_dwordx2 v[26:27], v[20:21], off offset:4024
	global_load_dwordx2 v[40:41], v[208:209], off offset:368
	;; [unrolled: 1-line block ×3, first 2 shown]
	s_waitcnt vmcnt(6) lgkmcnt(0)
	v_mul_f32_e32 v16, v5, v19
	v_fma_f32 v16, v4, v18, -v16
	v_mul_f32_e32 v17, v4, v19
	s_waitcnt vmcnt(5)
	v_mul_f32_e32 v4, v7, v25
	v_mul_f32_e32 v19, v6, v25
	v_fmac_f32_e32 v17, v5, v18
	v_fma_f32 v18, v6, v24, -v4
	v_fmac_f32_e32 v19, v7, v24
	ds_read2_b64 v[4:7], v121 offset0:114 offset1:169
	s_waitcnt vmcnt(2) lgkmcnt(0)
	v_mul_f32_e32 v24, v5, v27
	v_fma_f32 v24, v4, v26, -v24
	v_mul_f32_e32 v25, v4, v27
	s_waitcnt vmcnt(1)
	v_mul_f32_e32 v4, v7, v41
	v_mul_f32_e32 v27, v6, v41
	v_fmac_f32_e32 v25, v5, v26
	v_fma_f32 v26, v6, v40, -v4
	v_fmac_f32_e32 v27, v7, v40
	global_load_dwordx2 v[6:7], v[2:3], off offset:2640
	global_load_dwordx2 v[40:41], v[2:3], off offset:3080
	;; [unrolled: 1-line block ×4, first 2 shown]
	ds_read2_b64 v[2:5], v123 offset0:74 offset1:129
	s_waitcnt vmcnt(3) lgkmcnt(0)
	v_mul_f32_e32 v46, v3, v7
	v_fma_f32 v46, v2, v6, -v46
	v_mul_f32_e32 v47, v2, v7
	s_waitcnt vmcnt(2)
	v_mul_f32_e32 v2, v5, v41
	v_mul_f32_e32 v7, v4, v41
	v_fmac_f32_e32 v47, v3, v6
	v_fma_f32 v6, v4, v40, -v2
	v_fmac_f32_e32 v7, v5, v40
	global_load_dwordx2 v[40:41], v[38:39], off offset:1960
	global_load_dwordx2 v[48:49], v[38:39], off offset:2400
	;; [unrolled: 1-line block ×4, first 2 shown]
	ds_read2_b64 v[2:5], v37 offset0:112 offset1:167
	s_waitcnt vmcnt(3) lgkmcnt(0)
	v_mul_f32_e32 v54, v3, v41
	v_fma_f32 v54, v2, v40, -v54
	v_mul_f32_e32 v55, v2, v41
	s_waitcnt vmcnt(2)
	v_mul_f32_e32 v2, v5, v49
	v_mul_f32_e32 v41, v4, v49
	v_fmac_f32_e32 v55, v3, v40
	v_fma_f32 v40, v4, v48, -v2
	v_fmac_f32_e32 v41, v5, v48
	global_load_dwordx2 v[48:49], v[20:21], off offset:2264
	global_load_dwordx2 v[56:57], v[20:21], off offset:2704
	;; [unrolled: 1-line block ×3, first 2 shown]
	ds_read2_b64 v[2:5], v79 offset0:150 offset1:205
	s_waitcnt vmcnt(2) lgkmcnt(0)
	v_mul_f32_e32 v60, v3, v49
	v_fma_f32 v60, v2, v48, -v60
	v_mul_f32_e32 v61, v2, v49
	s_waitcnt vmcnt(1)
	v_mul_f32_e32 v2, v5, v57
	v_mul_f32_e32 v49, v4, v57
	v_fmac_f32_e32 v61, v3, v48
	v_fma_f32 v48, v4, v56, -v2
	v_fmac_f32_e32 v49, v5, v56
	ds_read2_b64 v[2:5], v36 offset0:110 offset1:165
	s_waitcnt lgkmcnt(0)
	v_mul_f32_e32 v56, v3, v31
	v_fma_f32 v56, v2, v30, -v56
	v_mul_f32_e32 v57, v2, v31
	v_mul_f32_e32 v2, v5, v29
	;; [unrolled: 1-line block ×3, first 2 shown]
	v_fmac_f32_e32 v57, v3, v30
	v_fma_f32 v30, v4, v28, -v2
	v_fmac_f32_e32 v31, v5, v28
	global_load_dwordx2 v[28:29], v[38:39], off offset:200
	global_load_dwordx2 v[62:63], v[38:39], off offset:640
	;; [unrolled: 1-line block ×3, first 2 shown]
	s_nop 0
	global_load_dwordx2 v[38:39], v[38:39], off offset:1520
	ds_read2_b64 v[2:5], v103 offset0:148 offset1:203
	s_waitcnt vmcnt(3) lgkmcnt(0)
	v_mul_f32_e32 v66, v3, v29
	v_fma_f32 v66, v2, v28, -v66
	v_mul_f32_e32 v67, v2, v29
	s_waitcnt vmcnt(2)
	v_mul_f32_e32 v2, v5, v63
	v_mul_f32_e32 v29, v4, v63
	v_fmac_f32_e32 v67, v3, v28
	v_fma_f32 v28, v4, v62, -v2
	v_fmac_f32_e32 v29, v5, v62
	ds_read2_b64 v[2:5], v125 offset0:186 offset1:241
	s_waitcnt lgkmcnt(0)
	v_mul_f32_e32 v62, v3, v35
	v_fma_f32 v62, v2, v34, -v62
	v_mul_f32_e32 v63, v2, v35
	v_mul_f32_e32 v2, v5, v33
	;; [unrolled: 1-line block ×3, first 2 shown]
	v_fmac_f32_e32 v63, v3, v34
	v_fma_f32 v34, v4, v32, -v2
	v_fmac_f32_e32 v35, v5, v32
	global_load_dwordx2 v[32:33], v[208:209], off offset:808
	global_load_dwordx2 v[68:69], v[208:209], off offset:1248
	global_load_dwordx2 v[70:71], v[208:209], off offset:1688
	ds_read2_b64 v[2:5], v143 offset0:96 offset1:151
	s_waitcnt vmcnt(2) lgkmcnt(0)
	v_mul_f32_e32 v72, v3, v33
	v_fma_f32 v72, v2, v32, -v72
	v_mul_f32_e32 v73, v2, v33
	s_waitcnt vmcnt(1)
	v_mul_f32_e32 v2, v5, v69
	v_mul_f32_e32 v33, v4, v69
	v_fmac_f32_e32 v73, v3, v32
	v_fma_f32 v32, v4, v68, -v2
	v_fmac_f32_e32 v33, v5, v68
	ds_read2_b64 v[2:5], v115 offset0:92 offset1:147
	s_waitcnt lgkmcnt(0)
	v_mul_f32_e32 v68, v5, v45
	v_fma_f32 v68, v4, v44, -v68
	v_mul_f32_e32 v69, v4, v45
	v_mul_f32_e32 v4, v3, v23
	v_mul_f32_e32 v45, v2, v23
	v_fmac_f32_e32 v69, v5, v44
	v_fma_f32 v44, v2, v22, -v4
	v_fmac_f32_e32 v45, v3, v22
	ds_read2_b64 v[2:5], v123 offset0:184 offset1:239
	s_waitcnt lgkmcnt(0)
	v_mul_f32_e32 v22, v3, v43
	v_fma_f32 v22, v2, v42, -v22
	v_mul_f32_e32 v23, v2, v43
	;; [unrolled: 10-line block ×4, first 2 shown]
	v_mul_f32_e32 v0, v3, v53
	v_mul_f32_e32 v51, v2, v53
	v_fmac_f32_e32 v65, v1, v50
	v_fma_f32 v50, v2, v52, -v0
	v_fmac_f32_e32 v51, v3, v52
	global_load_dwordx2 v[52:53], v[20:21], off offset:1384
	ds_read2_b64 v[0:3], v79 offset0:40 offset1:95
	global_load_dwordx2 v[20:21], v[20:21], off offset:3144
	s_waitcnt lgkmcnt(0)
	v_mul_f32_e32 v74, v3, v59
	v_fma_f32 v74, v2, v58, -v74
	v_mul_f32_e32 v75, v2, v59
	v_fmac_f32_e32 v75, v3, v58
	s_waitcnt vmcnt(1)
	v_mul_f32_e32 v2, v1, v53
	v_mul_f32_e32 v59, v0, v53
	v_fma_f32 v58, v0, v52, -v2
	v_fmac_f32_e32 v59, v1, v52
	ds_read2_b64 v[0:3], v121 offset0:4 offset1:59
	s_waitcnt vmcnt(0) lgkmcnt(0)
	v_mul_f32_e32 v52, v1, v21
	v_fma_f32 v52, v0, v20, -v52
	v_mul_f32_e32 v53, v0, v21
	v_mul_f32_e32 v0, v3, v9
	v_fmac_f32_e32 v53, v1, v20
	v_fma_f32 v0, v2, v8, -v0
	v_mul_f32_e32 v1, v2, v9
	v_add_u32_e32 v2, 0x1400, v36
	v_fmac_f32_e32 v1, v3, v8
	ds_write2_b64 v2, v[28:29], v[38:39] offset0:75 offset1:130
	ds_read_b64 v[2:3], v36 offset:14960
	s_waitcnt lgkmcnt(0)
	v_mul_f32_e32 v8, v3, v71
	v_mul_f32_e32 v9, v2, v71
	v_fma_f32 v8, v2, v70, -v8
	v_fmac_f32_e32 v9, v3, v70
	v_add_u32_e32 v2, 0x3800, v36
	ds_write2_b64 v2, v[32:33], v[8:9] offset0:23 offset1:78
	ds_write2_b64 v123, v[68:69], v[46:47] offset0:19 offset1:74
	;; [unrolled: 1-line block ×16, first 2 shown]
	s_waitcnt lgkmcnt(0)
	; wave barrier
	s_waitcnt lgkmcnt(0)
	ds_read2_b64 v[28:31], v37 offset0:2 offset1:57
	ds_read2_b64 v[0:3], v121 offset0:4 offset1:59
	;; [unrolled: 1-line block ×5, first 2 shown]
	s_waitcnt lgkmcnt(3)
	v_pk_add_f32 v[10:11], v[28:29], v[2:3]
	v_pk_add_f32 v[8:9], v[28:29], v[2:3] neg_lo:[0,1] neg_hi:[0,1]
	s_waitcnt lgkmcnt(2)
	v_mov_b32_e32 v29, v27
	s_waitcnt lgkmcnt(1)
	v_mov_b32_e32 v3, v21
	v_pk_add_f32 v[12:13], v[28:29], v[2:3]
	ds_read2_b64 v[2:5], v125 offset0:76 offset1:131
	v_accvgpr_read_b32 v10, a113
	s_waitcnt lgkmcnt(0)
	v_pk_add_f32 v[40:41], v[30:31], v[2:3]
	v_pk_add_f32 v[42:43], v[2:3], v[30:31] neg_lo:[0,1] neg_hi:[0,1]
	v_pk_add_f32 v[44:45], v[14:15], v[4:5]
	v_pk_add_f32 v[208:209], v[4:5], v[14:15] neg_lo:[0,1] neg_hi:[0,1]
	ds_read2_b64 v[2:5], v125 offset0:186 offset1:241
	v_mov_b32_e32 v72, v43
	v_mov_b32_e32 v125, v124
	s_waitcnt lgkmcnt(0)
	v_pk_add_f32 v[30:31], v[16:17], v[2:3]
	v_pk_add_f32 v[28:29], v[2:3], v[16:17] neg_lo:[0,1] neg_hi:[0,1]
	v_pk_add_f32 v[14:15], v[24:25], v[4:5]
	v_pk_add_f32 v[38:39], v[4:5], v[24:25] neg_lo:[0,1] neg_hi:[0,1]
	ds_read_b64 v[6:7], v36 offset:14960
	ds_read2_b64 v[2:5], v123 offset0:184 offset1:239
	ds_read2_b64 v[52:55], v103 offset0:148 offset1:203
	v_pk_add_f32 v[24:25], v[20:21], v[26:27] neg_lo:[0,1] neg_hi:[0,1]
	s_waitcnt lgkmcnt(1)
	v_pk_add_f32 v[18:19], v[4:5], v[6:7]
	v_pk_add_f32 v[16:17], v[4:5], v[6:7] neg_lo:[0,1] neg_hi:[0,1]
	v_mov_b32_e32 v4, v26
	s_waitcnt lgkmcnt(0)
	v_pk_add_f32 v[26:27], v[54:55], v[0:1]
	v_pk_add_f32 v[32:33], v[54:55], v[0:1] neg_lo:[0,1] neg_hi:[0,1]
	ds_read2_b64 v[54:57], v79 offset0:150 offset1:205
	v_mov_b32_e32 v6, v20
	v_pk_add_f32 v[20:21], v[4:5], v[6:7]
	ds_read2_b64 v[4:7], v143 offset0:96 offset1:151
	v_mov_b32_e32 v19, v21
	s_waitcnt lgkmcnt(1)
	v_pk_add_f32 v[46:47], v[52:53], v[56:57]
	v_pk_add_f32 v[48:49], v[52:53], v[56:57] neg_lo:[0,1] neg_hi:[0,1]
	ds_read2_b64 v[56:59], v103 offset0:38 offset1:93
	s_waitcnt lgkmcnt(1)
	v_pk_add_f32 v[34:35], v[2:3], v[6:7] neg_lo:[0,1] neg_hi:[0,1]
	s_waitcnt lgkmcnt(0)
	v_pk_add_f32 v[60:61], v[56:57], v[22:23]
	v_pk_add_f32 v[56:57], v[56:57], v[22:23] neg_lo:[0,1] neg_hi:[0,1]
	v_pk_add_f32 v[22:23], v[2:3], v[6:7]
	ds_read2_b64 v[0:3], v123 offset0:74 offset1:129
	v_pk_add_f32 v[50:51], v[58:59], v[54:55]
	v_pk_add_f32 v[58:59], v[58:59], v[54:55] neg_lo:[0,1] neg_hi:[0,1]
	v_mov_b32_e32 v54, v57
	v_mov_b32_e32 v55, v42
	s_waitcnt lgkmcnt(0)
	v_pk_add_f32 v[62:63], v[2:3], v[4:5]
	v_pk_add_f32 v[64:65], v[2:3], v[4:5] neg_lo:[0,1] neg_hi:[0,1]
	ds_read2_b64 v[4:7], v121 offset0:114 offset1:169
	v_mov_b32_e32 v73, v56
	v_mov_b32_e32 v123, v122
	s_waitcnt lgkmcnt(0)
	v_pk_add_f32 v[66:67], v[0:1], v[6:7]
	v_pk_add_f32 v[6:7], v[0:1], v[6:7] neg_lo:[0,1] neg_hi:[0,1]
	ds_read2_b64 v[0:3], v115 offset0:92 offset1:147
	s_waitcnt lgkmcnt(0)
	v_pk_add_f32 v[68:69], v[2:3], v[4:5]
	v_pk_add_f32 v[70:71], v[2:3], v[4:5] neg_lo:[0,1] neg_hi:[0,1]
	v_mov_b32_e32 v2, v40
	v_mov_b32_e32 v3, v69
	;; [unrolled: 1-line block ×4, first 2 shown]
	v_pk_add_f32 v[2:3], v[2:3], v[4:5] neg_lo:[0,1] neg_hi:[0,1]
	v_pk_add_f32 v[4:5], v[60:61], v[68:69]
	v_pk_mul_f32 v[210:211], v[2:3], s[8:9]
	v_pk_add_f32 v[52:53], v[40:41], v[4:5]
	v_mov_b32_e32 v4, v68
	v_mov_b32_e32 v5, v41
	;; [unrolled: 1-line block ×3, first 2 shown]
	v_pk_add_f32 v[40:41], v[4:5], v[40:41] neg_lo:[0,1] neg_hi:[0,1]
	v_mov_b32_e32 v4, v43
	v_mov_b32_e32 v5, v70
	v_pk_add_f32 v[4:5], v[4:5], v[54:55] neg_lo:[0,1] neg_hi:[0,1]
	v_mov_b32_e32 v54, v71
	v_pk_add_f32 v[42:43], v[42:43], v[56:57]
	v_pk_add_f32 v[72:73], v[54:55], v[72:73] neg_lo:[0,1] neg_hi:[0,1]
	v_pk_add_f32 v[42:43], v[42:43], v[70:71]
	v_pk_mul_f32 v[74:75], v[4:5], s[10:11]
	v_pk_mul_f32 v[4:5], v[42:43], s[0:1] op_sel_hi:[1,0]
	v_pk_fma_f32 v[54:55], v[72:73], s[16:17], v[74:75]
	v_pk_add_f32 v[56:57], v[56:57], v[70:71] neg_lo:[0,1] neg_hi:[0,1]
	v_pk_add_f32 v[54:55], v[4:5], v[54:55] op_sel:[1,0] op_sel_hi:[0,1]
	ds_read2_b64 v[2:5], v36 offset1:55
	v_mov_b32_e32 v70, v75
	v_accvgpr_read_b32 v75, a212
	s_waitcnt lgkmcnt(0)
	v_pk_add_f32 v[2:3], v[2:3], v[52:53]
	s_nop 0
	v_pk_fma_f32 v[212:213], v[52:53], s[18:19], v[2:3] op_sel_hi:[1,0,1] neg_lo:[1,0,0] neg_hi:[1,0,0]
	v_pk_fma_f32 v[52:53], v[40:41], s[20:21], v[210:211]
	v_pk_mul_f32 v[40:41], v[40:41], s[20:21]
	v_pk_add_f32 v[52:53], v[52:53], v[212:213]
	s_nop 0
	v_pk_add_f32 v[214:215], v[52:53], v[54:55]
	v_pk_add_f32 v[216:217], v[52:53], v[54:55] neg_lo:[0,1] neg_hi:[0,1]
	v_mov_b32_e32 v218, v214
	v_mov_b32_e32 v219, v217
	ds_read2_b64 v[52:55], v36 offset0:110 offset1:165
	s_waitcnt lgkmcnt(0)
	; wave barrier
	s_waitcnt lgkmcnt(0)
	ds_write2_b64 v10, v[2:3], v[218:219] offset1:1
	v_pk_add_f32 v[2:3], v[60:61], v[68:69] neg_lo:[0,1] neg_hi:[0,1]
	v_pk_mul_f32 v[60:61], v[72:73], s[16:17]
	v_mov_b32_e32 v68, v40
	v_mov_b32_e32 v69, v211
	v_mov_b32_e32 v71, v60
	v_mov_b32_e32 v211, v41
	v_mov_b32_e32 v40, v61
	v_mov_b32_e32 v41, v74
	v_pk_fma_f32 v[68:69], v[2:3], s[12:13], v[68:69] op_sel_hi:[1,0,1] neg_lo:[1,0,1] neg_hi:[1,0,1]
	v_pk_fma_f32 v[70:71], v[56:57], s[14:15], v[70:71] op_sel_hi:[1,0,1] neg_lo:[1,0,1] neg_hi:[1,0,1]
	;; [unrolled: 1-line block ×4, first 2 shown]
	v_pk_add_f32 v[68:69], v[68:69], v[212:213]
	v_pk_fma_f32 v[70:71], v[42:43], s[0:1], v[70:71] op_sel_hi:[1,0,1]
	v_pk_add_f32 v[2:3], v[2:3], v[212:213]
	v_pk_fma_f32 v[40:41], v[42:43], s[0:1], v[40:41] op_sel_hi:[1,0,1]
	v_pk_add_f32 v[72:73], v[68:69], v[70:71] op_sel:[0,1] op_sel_hi:[1,0]
	v_pk_add_f32 v[68:69], v[68:69], v[70:71] op_sel:[0,1] op_sel_hi:[1,0] neg_lo:[0,1] neg_hi:[0,1]
	v_pk_add_f32 v[42:43], v[2:3], v[40:41] op_sel:[0,1] op_sel_hi:[1,0] neg_lo:[0,1] neg_hi:[0,1]
	v_pk_add_f32 v[2:3], v[2:3], v[40:41] op_sel:[0,1] op_sel_hi:[1,0]
	v_mov_b32_e32 v40, v72
	v_mov_b32_e32 v41, v69
	;; [unrolled: 1-line block ×6, first 2 shown]
	ds_write2_b64 v10, v[40:41], v[56:57] offset0:2 offset1:3
	ds_write2_b64 v10, v[2:3], v[68:69] offset0:4 offset1:5
	v_pk_add_f32 v[2:3], v[50:51], v[66:67]
	v_mov_b32_e32 v40, v44
	v_mov_b32_e32 v41, v67
	;; [unrolled: 1-line block ×4, first 2 shown]
	v_pk_add_f32 v[2:3], v[44:45], v[2:3]
	v_pk_add_f32 v[40:41], v[40:41], v[42:43] neg_lo:[0,1] neg_hi:[0,1]
	v_mov_b32_e32 v42, v66
	v_mov_b32_e32 v45, v51
	v_pk_add_f32 v[42:43], v[42:43], v[44:45] neg_lo:[0,1] neg_hi:[0,1]
	v_mov_b32_e32 v44, v209
	v_mov_b32_e32 v45, v6
	;; [unrolled: 1-line block ×4, first 2 shown]
	v_pk_add_f32 v[44:45], v[44:45], v[56:57] neg_lo:[0,1] neg_hi:[0,1]
	v_mov_b32_e32 v56, v7
	v_mov_b32_e32 v60, v209
	;; [unrolled: 1-line block ×3, first 2 shown]
	v_pk_add_f32 v[56:57], v[56:57], v[60:61] neg_lo:[0,1] neg_hi:[0,1]
	v_pk_add_f32 v[60:61], v[208:209], v[58:59]
	v_pk_mul_f32 v[44:45], v[44:45], s[10:11]
	v_pk_add_f32 v[60:61], v[60:61], v[6:7]
	v_pk_add_f32 v[4:5], v[4:5], v[2:3]
	v_pk_mul_f32 v[68:69], v[60:61], s[0:1] op_sel_hi:[1,0]
	v_pk_fma_f32 v[70:71], v[56:57], s[16:17], v[44:45]
	v_pk_mul_f32 v[40:41], v[40:41], s[8:9]
	v_pk_add_f32 v[68:69], v[68:69], v[70:71] op_sel:[1,0] op_sel_hi:[0,1]
	v_pk_fma_f32 v[2:3], v[2:3], s[18:19], v[4:5] op_sel_hi:[1,0,1] neg_lo:[1,0,0] neg_hi:[1,0,0]
	v_pk_fma_f32 v[70:71], v[42:43], s[20:21], v[40:41]
	v_mov_b32_e32 v217, v215
	v_pk_add_f32 v[70:71], v[70:71], v[2:3]
	ds_write_b64 v10, v[216:217] offset:48
	v_pk_add_f32 v[72:73], v[70:71], v[68:69]
	v_pk_add_f32 v[68:69], v[70:71], v[68:69] neg_lo:[0,1] neg_hi:[0,1]
	v_mov_b32_e32 v70, v72
	v_mov_b32_e32 v71, v69
	v_accvgpr_read_b32 v10, a119
	v_pk_mul_f32 v[42:43], v[42:43], s[20:21]
	ds_write2_b64 v10, v[4:5], v[70:71] offset1:1
	v_pk_add_f32 v[4:5], v[50:51], v[66:67] neg_lo:[0,1] neg_hi:[0,1]
	v_pk_mul_f32 v[50:51], v[56:57], s[16:17]
	v_mov_b32_e32 v56, v42
	v_mov_b32_e32 v57, v41
	;; [unrolled: 1-line block ×3, first 2 shown]
	v_pk_add_f32 v[6:7], v[58:59], v[6:7] neg_lo:[0,1] neg_hi:[0,1]
	v_pk_fma_f32 v[56:57], v[4:5], s[12:13], v[56:57] op_sel_hi:[1,0,1] neg_lo:[1,0,1] neg_hi:[1,0,1]
	v_mov_b32_e32 v58, v45
	v_mov_b32_e32 v59, v50
	v_pk_fma_f32 v[4:5], v[4:5], s[12:13], v[40:41] op_sel_hi:[1,0,1] neg_lo:[0,0,1] neg_hi:[0,0,1]
	v_mov_b32_e32 v40, v51
	v_mov_b32_e32 v41, v44
	v_pk_fma_f32 v[58:59], v[6:7], s[14:15], v[58:59] op_sel_hi:[1,0,1] neg_lo:[1,0,1] neg_hi:[1,0,1]
	v_pk_fma_f32 v[6:7], v[6:7], s[14:15], v[40:41] op_sel_hi:[1,0,1] neg_lo:[0,0,1] neg_hi:[0,0,1]
	v_pk_add_f32 v[56:57], v[56:57], v[2:3]
	v_pk_fma_f32 v[58:59], v[60:61], s[0:1], v[58:59] op_sel_hi:[1,0,1]
	v_pk_add_f32 v[2:3], v[4:5], v[2:3]
	v_pk_fma_f32 v[4:5], v[60:61], s[0:1], v[6:7] op_sel_hi:[1,0,1]
	v_pk_add_f32 v[66:67], v[56:57], v[58:59] op_sel:[0,1] op_sel_hi:[1,0]
	v_pk_add_f32 v[56:57], v[56:57], v[58:59] op_sel:[0,1] op_sel_hi:[1,0] neg_lo:[0,1] neg_hi:[0,1]
	v_pk_add_f32 v[6:7], v[2:3], v[4:5] op_sel:[0,1] op_sel_hi:[1,0] neg_lo:[0,1] neg_hi:[0,1]
	v_pk_add_f32 v[2:3], v[2:3], v[4:5] op_sel:[0,1] op_sel_hi:[1,0]
	v_mov_b32_e32 v4, v66
	v_mov_b32_e32 v5, v57
	;; [unrolled: 1-line block ×6, first 2 shown]
	ds_write2_b64 v10, v[4:5], v[40:41] offset0:2 offset1:3
	ds_write2_b64 v10, v[2:3], v[56:57] offset0:4 offset1:5
	v_mov_b32_e32 v2, v30
	v_mov_b32_e32 v3, v63
	;; [unrolled: 1-line block ×4, first 2 shown]
	v_pk_add_f32 v[2:3], v[2:3], v[4:5] neg_lo:[0,1] neg_hi:[0,1]
	v_pk_add_f32 v[4:5], v[46:47], v[62:63]
	v_mov_b32_e32 v6, v62
	v_pk_add_f32 v[4:5], v[30:31], v[4:5]
	v_mov_b32_e32 v7, v31
	v_mov_b32_e32 v31, v47
	v_pk_add_f32 v[6:7], v[6:7], v[30:31] neg_lo:[0,1] neg_hi:[0,1]
	v_mov_b32_e32 v30, v29
	v_mov_b32_e32 v31, v64
	;; [unrolled: 1-line block ×4, first 2 shown]
	v_pk_add_f32 v[30:31], v[30:31], v[40:41] neg_lo:[0,1] neg_hi:[0,1]
	v_mov_b32_e32 v40, v65
	v_mov_b32_e32 v42, v29
	v_mov_b32_e32 v43, v48
	v_pk_add_f32 v[28:29], v[28:29], v[48:49]
	v_pk_add_f32 v[40:41], v[40:41], v[42:43] neg_lo:[0,1] neg_hi:[0,1]
	v_pk_add_f32 v[28:29], v[28:29], v[64:65]
	v_pk_mul_f32 v[30:31], v[30:31], s[10:11]
	v_pk_mul_f32 v[42:43], v[28:29], s[0:1] op_sel_hi:[1,0]
	v_pk_fma_f32 v[44:45], v[40:41], s[16:17], v[30:31]
	v_pk_mul_f32 v[2:3], v[2:3], s[8:9]
	v_pk_add_f32 v[42:43], v[42:43], v[44:45] op_sel:[1,0] op_sel_hi:[0,1]
	v_pk_add_f32 v[44:45], v[52:53], v[4:5]
	v_pk_fma_f32 v[50:51], v[6:7], s[20:21], v[2:3]
	v_pk_fma_f32 v[4:5], v[4:5], s[18:19], v[44:45] op_sel_hi:[1,0,1] neg_lo:[1,0,0] neg_hi:[1,0,0]
	v_mov_b32_e32 v69, v73
	v_pk_add_f32 v[50:51], v[50:51], v[4:5]
	ds_write_b64 v10, v[68:69] offset:48
	v_pk_add_f32 v[52:53], v[50:51], v[42:43]
	v_pk_add_f32 v[42:43], v[50:51], v[42:43] neg_lo:[0,1] neg_hi:[0,1]
	v_mov_b32_e32 v50, v52
	v_mov_b32_e32 v51, v43
	v_accvgpr_read_b32 v10, a121
	v_pk_mul_f32 v[6:7], v[6:7], s[20:21]
	v_pk_mul_f32 v[40:41], v[40:41], s[16:17]
	ds_write2_b64 v10, v[44:45], v[50:51] offset1:1
	v_pk_add_f32 v[44:45], v[46:47], v[62:63] neg_lo:[0,1] neg_hi:[0,1]
	v_pk_add_f32 v[46:47], v[48:49], v[64:65] neg_lo:[0,1] neg_hi:[0,1]
	v_mov_b32_e32 v48, v6
	v_mov_b32_e32 v49, v3
	;; [unrolled: 1-line block ×7, first 2 shown]
	v_pk_fma_f32 v[48:49], v[44:45], s[12:13], v[48:49] op_sel_hi:[1,0,1] neg_lo:[1,0,1] neg_hi:[1,0,1]
	v_pk_fma_f32 v[50:51], v[46:47], s[14:15], v[50:51] op_sel_hi:[1,0,1] neg_lo:[1,0,1] neg_hi:[1,0,1]
	;; [unrolled: 1-line block ×4, first 2 shown]
	v_pk_add_f32 v[48:49], v[48:49], v[4:5]
	v_pk_fma_f32 v[50:51], v[28:29], s[0:1], v[50:51] op_sel_hi:[1,0,1]
	v_pk_add_f32 v[2:3], v[2:3], v[4:5]
	v_pk_fma_f32 v[4:5], v[28:29], s[0:1], v[6:7] op_sel_hi:[1,0,1]
	v_pk_add_f32 v[56:57], v[48:49], v[50:51] op_sel:[0,1] op_sel_hi:[1,0]
	v_pk_add_f32 v[48:49], v[48:49], v[50:51] op_sel:[0,1] op_sel_hi:[1,0] neg_lo:[0,1] neg_hi:[0,1]
	v_pk_add_f32 v[6:7], v[2:3], v[4:5] op_sel:[0,1] op_sel_hi:[1,0] neg_lo:[0,1] neg_hi:[0,1]
	v_pk_add_f32 v[2:3], v[2:3], v[4:5] op_sel:[0,1] op_sel_hi:[1,0]
	v_mov_b32_e32 v4, v56
	v_mov_b32_e32 v5, v49
	v_mov_b32_e32 v28, v6
	v_mov_b32_e32 v29, v3
	v_mov_b32_e32 v3, v7
	v_mov_b32_e32 v49, v57
	ds_write2_b64 v10, v[4:5], v[28:29] offset0:2 offset1:3
	ds_write2_b64 v10, v[2:3], v[48:49] offset0:4 offset1:5
	v_pk_add_f32 v[2:3], v[26:27], v[22:23]
	v_mov_b32_e32 v6, v14
	v_mov_b32_e32 v7, v23
	;; [unrolled: 1-line block ×4, first 2 shown]
	v_pk_add_f32 v[2:3], v[14:15], v[2:3]
	v_pk_add_f32 v[6:7], v[6:7], v[28:29] neg_lo:[0,1] neg_hi:[0,1]
	v_mov_b32_e32 v28, v22
	v_mov_b32_e32 v15, v27
	v_pk_add_f32 v[14:15], v[28:29], v[14:15] neg_lo:[0,1] neg_hi:[0,1]
	v_mov_b32_e32 v28, v39
	v_mov_b32_e32 v29, v34
	;; [unrolled: 1-line block ×4, first 2 shown]
	v_pk_add_f32 v[28:29], v[28:29], v[30:31] neg_lo:[0,1] neg_hi:[0,1]
	v_mov_b32_e32 v30, v35
	v_mov_b32_e32 v40, v39
	v_mov_b32_e32 v41, v32
	v_pk_add_f32 v[38:39], v[38:39], v[32:33]
	v_mov_b32_e32 v43, v53
	v_pk_add_f32 v[30:31], v[30:31], v[40:41] neg_lo:[0,1] neg_hi:[0,1]
	v_pk_add_f32 v[38:39], v[38:39], v[34:35]
	v_pk_mul_f32 v[28:29], v[28:29], s[10:11]
	ds_write_b64 v10, v[42:43] offset:48
	v_pk_add_f32 v[4:5], v[54:55], v[2:3]
	v_pk_mul_f32 v[40:41], v[38:39], s[0:1] op_sel_hi:[1,0]
	v_pk_fma_f32 v[42:43], v[30:31], s[16:17], v[28:29]
	v_pk_mul_f32 v[6:7], v[6:7], s[8:9]
	v_pk_add_f32 v[40:41], v[40:41], v[42:43] op_sel:[1,0] op_sel_hi:[0,1]
	v_pk_fma_f32 v[2:3], v[2:3], s[18:19], v[4:5] op_sel_hi:[1,0,1] neg_lo:[1,0,0] neg_hi:[1,0,0]
	v_pk_fma_f32 v[42:43], v[14:15], s[20:21], v[6:7]
	v_accvgpr_read_b32 v10, a117
	v_pk_add_f32 v[42:43], v[42:43], v[2:3]
	v_pk_mul_f32 v[14:15], v[14:15], s[20:21]
	v_pk_add_f32 v[44:45], v[42:43], v[40:41]
	v_pk_add_f32 v[40:41], v[42:43], v[40:41] neg_lo:[0,1] neg_hi:[0,1]
	v_mov_b32_e32 v42, v44
	v_mov_b32_e32 v43, v41
	ds_write2_b64 v10, v[4:5], v[42:43] offset1:1
	v_pk_add_f32 v[4:5], v[26:27], v[22:23] neg_lo:[0,1] neg_hi:[0,1]
	v_pk_mul_f32 v[26:27], v[30:31], s[16:17]
	v_mov_b32_e32 v30, v14
	v_mov_b32_e32 v31, v7
	;; [unrolled: 1-line block ×3, first 2 shown]
	v_pk_add_f32 v[22:23], v[32:33], v[34:35] neg_lo:[0,1] neg_hi:[0,1]
	v_pk_fma_f32 v[30:31], v[4:5], s[12:13], v[30:31] op_sel_hi:[1,0,1] neg_lo:[1,0,1] neg_hi:[1,0,1]
	v_mov_b32_e32 v32, v29
	v_mov_b32_e32 v33, v26
	v_pk_fma_f32 v[4:5], v[4:5], s[12:13], v[6:7] op_sel_hi:[1,0,1] neg_lo:[0,0,1] neg_hi:[0,0,1]
	v_mov_b32_e32 v6, v27
	v_mov_b32_e32 v7, v28
	v_pk_fma_f32 v[32:33], v[22:23], s[14:15], v[32:33] op_sel_hi:[1,0,1] neg_lo:[1,0,1] neg_hi:[1,0,1]
	v_pk_fma_f32 v[6:7], v[22:23], s[14:15], v[6:7] op_sel_hi:[1,0,1] neg_lo:[0,0,1] neg_hi:[0,0,1]
	v_pk_add_f32 v[30:31], v[30:31], v[2:3]
	v_pk_fma_f32 v[32:33], v[38:39], s[0:1], v[32:33] op_sel_hi:[1,0,1]
	v_pk_add_f32 v[2:3], v[4:5], v[2:3]
	v_pk_fma_f32 v[4:5], v[38:39], s[0:1], v[6:7] op_sel_hi:[1,0,1]
	v_pk_add_f32 v[34:35], v[30:31], v[32:33] op_sel:[0,1] op_sel_hi:[1,0]
	v_pk_add_f32 v[30:31], v[30:31], v[32:33] op_sel:[0,1] op_sel_hi:[1,0] neg_lo:[0,1] neg_hi:[0,1]
	v_pk_add_f32 v[6:7], v[2:3], v[4:5] op_sel:[0,1] op_sel_hi:[1,0] neg_lo:[0,1] neg_hi:[0,1]
	v_pk_add_f32 v[2:3], v[2:3], v[4:5] op_sel:[0,1] op_sel_hi:[1,0]
	v_mov_b32_e32 v4, v34
	v_mov_b32_e32 v5, v31
	;; [unrolled: 1-line block ×6, first 2 shown]
	ds_write2_b64 v10, v[4:5], v[14:15] offset0:2 offset1:3
	ds_write2_b64 v10, v[2:3], v[30:31] offset0:4 offset1:5
	v_mov_b32_e32 v2, v25
	v_mov_b32_e32 v3, v16
	v_mov_b32_e32 v4, v9
	v_mov_b32_e32 v5, v24
	v_mov_b32_e32 v41, v45
	v_pk_add_f32 v[2:3], v[2:3], v[4:5] neg_lo:[0,1] neg_hi:[0,1]
	v_mov_b32_e32 v4, v17
	v_mov_b32_e32 v6, v25
	;; [unrolled: 1-line block ×3, first 2 shown]
	ds_write_b64 v10, v[40:41] offset:48
	v_pk_add_f32 v[4:5], v[4:5], v[6:7] neg_lo:[0,1] neg_hi:[0,1]
	v_mov_b32_e32 v10, v12
	v_pk_add_f32 v[6:7], v[20:21], v[12:13] neg_lo:[0,1] neg_hi:[0,1]
	v_mov_b32_e32 v12, v18
	v_mov_b32_e32 v21, v11
	v_pk_add_f32 v[14:15], v[12:13], v[20:21] neg_lo:[0,1] neg_hi:[0,1]
	v_mov_b32_e32 v21, v13
	v_pk_add_f32 v[12:13], v[10:11], v[18:19]
	v_pk_mul_f32 v[22:23], v[14:15], s[20:21]
	v_pk_add_f32 v[12:13], v[20:21], v[12:13]
	v_pk_add_f32 v[20:21], v[24:25], v[8:9]
	;; [unrolled: 1-line block ×4, first 2 shown]
	v_pk_mul_f32 v[4:5], v[4:5], s[16:17]
	v_pk_fma_f32 v[12:13], v[12:13], s[18:19], v[0:1] op_sel_hi:[1,0,1] neg_lo:[1,0,0] neg_hi:[1,0,0]
	v_pk_fma_f32 v[14:15], v[6:7], s[8:9], v[22:23]
	v_pk_mul_f32 v[26:27], v[20:21], s[0:1] op_sel_hi:[1,0]
	v_pk_add_f32 v[24:25], v[14:15], v[12:13]
	v_pk_fma_f32 v[14:15], v[2:3], s[10:11], v[4:5]
	v_pk_mul_f32 v[2:3], v[2:3], s[10:11]
	v_pk_add_f32 v[28:29], v[26:27], v[14:15] op_sel:[1,0] op_sel_hi:[0,1]
	v_pk_add_f32 v[30:31], v[24:25], v[28:29]
	v_pk_add_f32 v[210:211], v[24:25], v[28:29] neg_lo:[0,1] neg_hi:[0,1]
	v_mov_b32_e32 v24, v30
	v_mov_b32_e32 v25, v211
	v_accvgpr_read_b32 v15, a115
	ds_write2_b64 v15, v[0:1], v[24:25] offset1:1
	v_pk_add_f32 v[0:1], v[10:11], v[18:19] neg_lo:[0,1] neg_hi:[0,1]
	v_pk_add_f32 v[8:9], v[8:9], v[16:17] neg_lo:[0,1] neg_hi:[0,1]
	v_mov_b32_e32 v10, v5
	v_mov_b32_e32 v11, v2
	v_pk_fma_f32 v[10:11], v[8:9], s[14:15], v[10:11] op_sel_hi:[1,0,1] neg_lo:[0,0,1] neg_hi:[0,0,1]
	v_pk_mul_f32 v[8:9], v[8:9], s[14:15] op_sel_hi:[1,0]
	v_mov_b32_e32 v2, v26
	v_sub_f32_e64 v14, -v9, v4
	v_pk_mul_f32 v[4:5], v[6:7], s[8:9]
	v_pk_fma_f32 v[10:11], v[20:21], s[0:1], v[10:11] op_sel_hi:[1,0,1]
	v_mov_b32_e32 v9, v5
	v_mov_b32_e32 v5, v23
	v_pk_fma_f32 v[4:5], v[0:1], s[12:13], v[4:5] op_sel_hi:[1,0,1] neg_lo:[0,0,1] neg_hi:[0,0,1]
	v_pk_mul_f32 v[0:1], v[0:1], s[12:13] op_sel_hi:[1,0]
	v_mov_b32_e32 v211, v31
	v_sub_f32_e64 v6, -v22, v0
	v_mov_b32_e32 v0, v3
	v_pk_add_f32 v[0:1], v[8:9], v[0:1] neg_lo:[1,1] neg_hi:[1,1]
	v_mov_b32_e32 v3, v13
	v_pk_add_f32 v[0:1], v[2:3], v[0:1]
	v_pk_add_f32 v[2:3], v[4:5], v[12:13]
	v_add_f32_e32 v6, v6, v12
	v_add_f32_e32 v8, v27, v14
	v_mov_b32_e32 v9, v1
	v_mov_b32_e32 v7, v0
	v_pk_add_f32 v[4:5], v[2:3], v[10:11] op_sel:[0,1] op_sel_hi:[1,0] neg_lo:[0,1] neg_hi:[0,1]
	v_pk_add_f32 v[2:3], v[2:3], v[10:11] op_sel:[0,1] op_sel_hi:[1,0]
	v_pk_add_f32 v[208:209], v[8:9], v[6:7]
	v_pk_add_f32 v[0:1], v[0:1], v[6:7] neg_lo:[0,1] neg_hi:[0,1]
	v_pk_add_f32 v[12:13], v[6:7], v[8:9] neg_lo:[0,1] neg_hi:[0,1]
	v_mov_b32_e32 v0, v208
	v_mov_b32_e32 v10, v4
	;; [unrolled: 1-line block ×5, first 2 shown]
	ds_write2_b64 v15, v[0:1], v[10:11] offset0:2 offset1:3
	v_mov_b32_e32 v5, v121
	ds_write2_b64 v15, v[2:3], v[12:13] offset0:4 offset1:5
	v_accvgpr_write_b32 a25, v31
	ds_write_b64 v15, v[210:211] offset:48
	s_waitcnt lgkmcnt(0)
	; wave barrier
	s_waitcnt lgkmcnt(0)
	ds_read_b64 v[8:9], v36 offset:14880
	ds_read2_b64 v[220:223], v91 offset0:94 offset1:149
	ds_read2_b64 v[224:227], v99 offset0:76 offset1:141
	;; [unrolled: 1-line block ×9, first 2 shown]
	ds_read2_b64 v[24:27], v79 offset1:55
	ds_read2_b64 v[212:215], v36 offset0:110 offset1:175
	ds_read2_b64 v[216:219], v36 offset1:55
	ds_read2_b64 v[232:235], v103 offset0:188 offset1:243
	ds_read2_b64 v[228:231], v115 offset0:102 offset1:157
	;; [unrolled: 1-line block ×4, first 2 shown]
	v_accvgpr_read_b32 v74, a212
	v_accvgpr_mov_b32 a212, a216
	v_accvgpr_read_b32 v52, a148
	v_accvgpr_read_b32 v64, a174
	v_accvgpr_mov_b32 a213, a217
	v_accvgpr_read_b32 v53, a149
	v_accvgpr_read_b32 v54, a150
	v_accvgpr_mov_b32 a150, a240
	v_accvgpr_mov_b32 a216, a242
	v_accvgpr_read_b32 v65, a175
	v_accvgpr_read_b32 v66, a176
	;; [unrolled: 1-line block ×3, first 2 shown]
	v_accvgpr_mov_b32 a174, a178
	v_accvgpr_mov_b32 a151, a241
	;; [unrolled: 1-line block ×5, first 2 shown]
	v_accvgpr_read_b32 v14, a130
	v_accvgpr_read_b32 v15, a130
	;; [unrolled: 1-line block ×22, first 2 shown]
	v_accvgpr_mov_b32 a175, a179
	v_accvgpr_mov_b32 a176, a180
	;; [unrolled: 1-line block ×3, first 2 shown]
	v_accvgpr_read_b32 v70, a190
	v_accvgpr_read_b32 v72, a192
	;; [unrolled: 1-line block ×6, first 2 shown]
	v_mov_b32_e32 v55, v54
	v_accvgpr_mov_b32 a241, a247
	v_mov_b32_e32 v121, v120
	v_accvgpr_mov_b32 a243, a249
	v_accvgpr_read_b32 v60, a142
	v_accvgpr_read_b32 v62, a144
	;; [unrolled: 1-line block ×8, first 2 shown]
	v_accvgpr_write_b32 a118, v96
	v_accvgpr_write_b32 a120, v98
	;; [unrolled: 1-line block ×23, first 2 shown]
	s_and_saveexec_b64 s[0:1], vcc
	s_cbranch_execz .LBB0_7
; %bb.6:
	v_add_u32_e32 v4, 0x1a00, v36
	ds_read2_b64 v[208:211], v115 offset0:37 offset1:212
	ds_read2_b64 a[94:97], v103 offset0:3 offset1:178
	;; [unrolled: 1-line block ×5, first 2 shown]
	ds_read_b64 a[152:153], v36 offset:15320
	s_waitcnt lgkmcnt(5)
	v_mov_b32_e32 v12, v208
	v_accvgpr_write_b32 a25, v211
.LBB0_7:
	s_or_b64 exec, exec, s[0:1]
	s_waitcnt lgkmcnt(14)
	v_pk_mul_f32 v[16:17], v[16:17], v[8:9]
	s_waitcnt lgkmcnt(0)
	v_pk_mul_f32 v[4:5], v[38:39], v[2:3]
	v_pk_fma_f32 v[18:19], v[62:63], v[8:9], v[16:17] op_sel:[0,0,1] op_sel_hi:[1,1,0]
	v_pk_fma_f32 v[98:99], v[62:63], v[8:9], v[16:17] op_sel:[0,0,1] op_sel_hi:[1,1,0] neg_lo:[0,0,1] neg_hi:[0,0,1]
	v_pk_fma_f32 v[8:9], v[60:61], v[2:3], v[4:5] op_sel:[0,0,1] op_sel_hi:[1,1,0]
	v_pk_fma_f32 v[2:3], v[60:61], v[2:3], v[4:5] op_sel:[0,0,1] op_sel_hi:[1,1,0] neg_lo:[0,0,1] neg_hi:[0,0,1]
	v_mov_b64_e32 v[60:61], v[64:65]
	v_mov_b32_e32 v9, v3
	v_pk_mul_f32 v[2:3], v[10:11], v[0:1]
	v_mov_b64_e32 v[62:63], v[66:67]
	v_pk_fma_f32 v[10:11], v[124:125], v[0:1], v[2:3] op_sel:[0,0,1] op_sel_hi:[1,1,0]
	v_pk_fma_f32 v[38:39], v[124:125], v[0:1], v[2:3] op_sel:[0,0,1] op_sel_hi:[1,1,0] neg_lo:[0,0,1] neg_hi:[0,0,1]
	v_accvgpr_read_b32 v0, a212
	v_accvgpr_read_b32 v1, a213
	v_pk_mul_f32 v[0:1], v[0:1], v[34:35]
	v_accvgpr_read_b32 v76, a174
	v_pk_fma_f32 v[124:125], v[126:127], v[34:35], v[0:1] op_sel:[0,0,1] op_sel_hi:[1,1,0]
	v_pk_fma_f32 v[126:127], v[126:127], v[34:35], v[0:1] op_sel:[0,0,1] op_sel_hi:[1,1,0] neg_lo:[0,0,1] neg_hi:[0,0,1]
	v_pk_mul_f32 v[0:1], v[6:7], v[32:33]
	v_accvgpr_read_b32 v77, a175
	v_pk_fma_f32 v[4:5], v[62:63], v[32:33], v[0:1] op_sel:[0,0,1] op_sel_hi:[1,1,0]
	v_pk_fma_f32 v[6:7], v[62:63], v[32:33], v[0:1] op_sel:[0,0,1] op_sel_hi:[1,1,0] neg_lo:[0,0,1] neg_hi:[0,0,1]
	v_accvgpr_read_b32 v0, a22
	v_accvgpr_read_b32 v1, a23
	v_pk_mul_f32 v[0:1], v[0:1], v[30:31]
	v_accvgpr_read_b32 v32, a182
	v_pk_fma_f32 v[64:65], v[60:61], v[30:31], v[0:1] op_sel:[0,0,1] op_sel_hi:[1,1,0]
	v_pk_fma_f32 v[66:67], v[60:61], v[30:31], v[0:1] op_sel:[0,0,1] op_sel_hi:[1,1,0] neg_lo:[0,0,1] neg_hi:[0,0,1]
	v_accvgpr_read_b32 v0, a242
	v_accvgpr_read_b32 v1, a243
	;; [unrolled: 6-line block ×4, first 2 shown]
	v_pk_mul_f32 v[16:17], v[16:17], v[24:25]
	v_accvgpr_read_b32 v33, a183
	v_pk_fma_f32 v[60:61], v[70:71], v[24:25], v[16:17] op_sel:[0,0,1] op_sel_hi:[1,1,0]
	v_pk_fma_f32 v[116:117], v[70:71], v[24:25], v[16:17] op_sel:[0,0,1] op_sel_hi:[1,1,0] neg_lo:[0,0,1] neg_hi:[0,0,1]
	v_pk_mul_f32 v[16:17], v[74:75], v[22:23]
	v_accvgpr_read_b32 v78, a176
	v_pk_fma_f32 v[62:63], v[72:73], v[22:23], v[16:17] op_sel:[0,0,1] op_sel_hi:[1,1,0]
	v_pk_fma_f32 v[118:119], v[72:73], v[22:23], v[16:17] op_sel:[0,0,1] op_sel_hi:[1,1,0] neg_lo:[0,0,1] neg_hi:[0,0,1]
	;; [unrolled: 4-line block ×3, first 2 shown]
	v_accvgpr_read_b32 v17, a7
	v_accvgpr_read_b32 v16, a6
	v_pk_mul_f32 v[16:17], v[16:17], v[254:255]
	v_accvgpr_read_b32 v128, a186
	v_pk_fma_f32 v[72:73], v[48:49], v[254:255], v[16:17] op_sel:[0,0,1] op_sel_hi:[1,1,0]
	v_pk_fma_f32 v[74:75], v[48:49], v[254:255], v[16:17] op_sel:[0,0,1] op_sel_hi:[1,1,0] neg_lo:[0,0,1] neg_hi:[0,0,1]
	v_accvgpr_read_b32 v16, a240
	v_accvgpr_read_b32 v17, a241
	v_pk_mul_f32 v[20:21], v[16:17], v[252:253]
	v_accvgpr_read_b32 v129, a187
	v_pk_fma_f32 v[16:17], v[34:35], v[252:253], v[20:21] op_sel:[0,0,1] op_sel_hi:[1,1,0]
	v_pk_fma_f32 v[30:31], v[34:35], v[252:253], v[20:21] op_sel:[0,0,1] op_sel_hi:[1,1,0] neg_lo:[0,0,1] neg_hi:[0,0,1]
	;; [unrolled: 6-line block ×4, first 2 shown]
	v_accvgpr_read_b32 v22, a206
	v_accvgpr_read_b32 v23, a207
	v_pk_mul_f32 v[22:23], v[22:23], v[246:247]
	v_mov_b32_e32 v5, v7
	v_pk_fma_f32 v[108:109], v[78:79], v[246:247], v[22:23] op_sel:[0,0,1] op_sel_hi:[1,1,0]
	v_pk_fma_f32 v[110:111], v[78:79], v[246:247], v[22:23] op_sel:[0,0,1] op_sel_hi:[1,1,0] neg_lo:[0,0,1] neg_hi:[0,0,1]
	v_pk_mul_f32 v[22:23], v[58:59], v[244:245]
	v_mov_b32_e32 v73, v75
	v_pk_fma_f32 v[114:115], v[46:47], v[244:245], v[22:23] op_sel:[0,0,1] op_sel_hi:[1,1,0]
	v_pk_fma_f32 v[120:121], v[46:47], v[244:245], v[22:23] op_sel:[0,0,1] op_sel_hi:[1,1,0] neg_lo:[0,0,1] neg_hi:[0,0,1]
	v_accvgpr_read_b32 v23, a15
	v_accvgpr_read_b32 v22, a14
	v_pk_mul_f32 v[22:23], v[22:23], v[238:239]
	v_mov_b32_e32 v115, v121
	v_pk_fma_f32 v[122:123], v[44:45], v[238:239], v[22:23] op_sel:[0,0,1] op_sel_hi:[1,1,0]
	v_pk_fma_f32 v[238:239], v[44:45], v[238:239], v[22:23] op_sel:[0,0,1] op_sel_hi:[1,1,0] neg_lo:[0,0,1] neg_hi:[0,0,1]
	v_accvgpr_read_b32 v22, a216
	v_accvgpr_read_b32 v23, a217
	;; [unrolled: 6-line block ×5, first 2 shown]
	v_pk_mul_f32 v[34:35], v[34:35], v[234:235]
	s_mov_b32 s18, 0xbf0a6770
	v_pk_fma_f32 v[88:89], v[146:147], v[234:235], v[34:35] op_sel:[0,0,1] op_sel_hi:[1,1,0]
	v_pk_fma_f32 v[106:107], v[146:147], v[234:235], v[34:35] op_sel:[0,0,1] op_sel_hi:[1,1,0] neg_lo:[0,0,1] neg_hi:[0,0,1]
	v_pk_mul_f32 v[34:35], v[56:57], v[232:233]
	s_mov_b32 s8, 0x3f575c64
	v_pk_fma_f32 v[234:235], v[42:43], v[232:233], v[34:35] op_sel:[0,0,1] op_sel_hi:[1,1,0]
	v_pk_fma_f32 v[232:233], v[42:43], v[232:233], v[34:35] op_sel:[0,0,1] op_sel_hi:[1,1,0] neg_lo:[0,0,1] neg_hi:[0,0,1]
	v_accvgpr_read_b32 v35, a27
	v_accvgpr_read_b32 v34, a26
	v_pk_mul_f32 v[34:35], v[34:35], v[226:227]
	v_pk_mul_f32 v[42:43], v[52:53], v[230:231] op_sel:[1,0]
	v_pk_fma_f32 v[236:237], v[40:41], v[226:227], v[34:35] op_sel:[0,0,1] op_sel_hi:[1,1,0]
	v_pk_fma_f32 v[226:227], v[40:41], v[226:227], v[34:35] op_sel:[0,0,1] op_sel_hi:[1,1,0] neg_lo:[0,0,1] neg_hi:[0,0,1]
	v_accvgpr_read_b32 v34, a150
	v_accvgpr_read_b32 v35, a151
	v_pk_mul_f32 v[40:41], v[34:35], v[224:225]
	v_mov_b32_e32 v237, v227
	v_pk_fma_f32 v[34:35], v[54:55], v[224:225], v[40:41] op_sel:[0,0,1] op_sel_hi:[1,1,0]
	v_pk_fma_f32 v[48:49], v[54:55], v[224:225], v[40:41] op_sel:[0,0,1] op_sel_hi:[1,1,0] neg_lo:[0,0,1] neg_hi:[0,0,1]
	v_pk_fma_f32 v[40:41], v[52:53], v[230:231], v[42:43] op_sel:[0,0,1] op_sel_hi:[1,1,0]
	v_pk_fma_f32 v[42:43], v[52:53], v[230:231], v[42:43] op_sel:[0,0,1] op_sel_hi:[0,1,0] neg_lo:[0,0,1] neg_hi:[0,0,1]
	v_pk_mul_f32 v[52:53], v[132:133], v[228:229] op_sel:[1,0]
	v_mov_b32_e32 v235, v233
	v_pk_fma_f32 v[56:57], v[132:133], v[228:229], v[52:53] op_sel:[0,0,1] op_sel_hi:[1,1,0]
	v_pk_fma_f32 v[58:59], v[132:133], v[228:229], v[52:53] op_sel:[0,0,1] op_sel_hi:[0,1,0] neg_lo:[0,0,1] neg_hi:[0,0,1]
	v_accvgpr_read_b32 v52, a204
	v_accvgpr_read_b32 v53, a205
	v_pk_mul_f32 v[54:55], v[52:53], v[222:223]
	s_mov_b32 s30, 0xbf68dda4
	v_pk_fma_f32 v[52:53], v[134:135], v[222:223], v[54:55] op_sel:[0,0,1] op_sel_hi:[1,1,0]
	v_pk_fma_f32 v[54:55], v[134:135], v[222:223], v[54:55] op_sel:[0,0,1] op_sel_hi:[1,1,0] neg_lo:[0,0,1] neg_hi:[0,0,1]
	v_pk_mul_f32 v[222:223], v[14:15], v[220:221]
	s_mov_b32 s0, 0x3ed4b147
	v_pk_fma_f32 v[224:225], v[130:131], v[220:221], v[222:223] op_sel:[0,0,1] op_sel_hi:[1,1,0]
	v_pk_fma_f32 v[220:221], v[130:131], v[220:221], v[222:223] op_sel:[0,0,1] op_sel_hi:[1,1,0] neg_lo:[0,0,1] neg_hi:[0,0,1]
	v_pk_mul_f32 v[222:223], v[128:129], v[214:215] op_sel:[1,0]
	v_mov_b32_e32 v225, v221
	v_pk_fma_f32 v[228:229], v[128:129], v[214:215], v[222:223] op_sel:[0,0,1] op_sel_hi:[1,1,0]
	v_pk_fma_f32 v[214:215], v[128:129], v[214:215], v[222:223] op_sel:[0,0,1] op_sel_hi:[0,1,0] neg_lo:[0,0,1] neg_hi:[0,0,1]
	v_mov_b32_e32 v229, v215
	v_pk_add_f32 v[6:7], v[216:217], v[228:229]
	v_pk_add_f32 v[66:67], v[228:229], v[4:5]
	;; [unrolled: 1-line block ×5, first 2 shown]
	s_mov_b32 s12, 0xbf7d64f0
	v_pk_add_f32 v[6:7], v[6:7], v[234:235]
	s_mov_b32 s10, 0xbe11bafb
	v_pk_add_f32 v[6:7], v[6:7], v[122:123]
	;; [unrolled: 2-line block ×6, first 2 shown]
	v_pk_add_f32 v[64:65], v[224:225], v[64:65] neg_lo:[0,1] neg_hi:[0,1]
	v_pk_add_f32 v[6:7], v[6:7], v[4:5]
	v_pk_add_f32 v[4:5], v[228:229], v[4:5] neg_lo:[0,1] neg_hi:[0,1]
	v_pk_mul_f32 v[220:221], v[64:65], s[30:31] op_sel_hi:[1,0]
	v_pk_mul_f32 v[74:75], v[4:5], s[18:19] op_sel_hi:[1,0]
	v_pk_fma_f32 v[222:223], v[70:71], s[0:1], v[220:221] op_sel:[0,0,1] op_sel_hi:[1,0,0]
	v_pk_fma_f32 v[120:121], v[66:67], s[8:9], v[74:75] op_sel:[0,0,1] op_sel_hi:[1,0,0]
	v_pk_fma_f32 v[74:75], v[66:67], s[8:9], v[74:75] op_sel:[0,0,1] op_sel_hi:[1,0,0] neg_lo:[0,0,1] neg_hi:[0,0,1]
	v_mov_b32_e32 v214, v120
	v_mov_b32_e32 v215, v75
	v_pk_fma_f32 v[220:221], v[70:71], s[0:1], v[220:221] op_sel:[0,0,1] op_sel_hi:[1,0,0] neg_lo:[0,0,1] neg_hi:[0,0,1]
	v_pk_add_f32 v[214:215], v[216:217], v[214:215]
	v_mov_b32_e32 v224, v222
	v_mov_b32_e32 v225, v221
	v_pk_add_f32 v[214:215], v[224:225], v[214:215]
	v_pk_add_f32 v[224:225], v[236:237], v[68:69]
	v_pk_add_f32 v[68:69], v[236:237], v[68:69] neg_lo:[0,1] neg_hi:[0,1]
	v_accvgpr_read_b32 v1, a111
	v_pk_mul_f32 v[226:227], v[68:69], s[12:13] op_sel_hi:[1,0]
	s_nop 0
	v_pk_fma_f32 v[228:229], v[224:225], s[10:11], v[226:227] op_sel:[0,0,1] op_sel_hi:[1,0,0]
	v_pk_fma_f32 v[226:227], v[224:225], s[10:11], v[226:227] op_sel:[0,0,1] op_sel_hi:[1,0,0] neg_lo:[0,0,1] neg_hi:[0,0,1]
	v_mov_b32_e32 v230, v228
	v_mov_b32_e32 v231, v227
	v_pk_add_f32 v[214:215], v[230:231], v[214:215]
	v_pk_add_f32 v[230:231], v[234:235], v[72:73]
	v_pk_add_f32 v[72:73], v[234:235], v[72:73] neg_lo:[0,1] neg_hi:[0,1]
	; wave barrier
	s_nop 0
	v_pk_mul_f32 v[232:233], v[72:73], s[16:17] op_sel_hi:[1,0]
	v_pk_mul_f32 v[242:243], v[64:65], s[16:17] op_sel_hi:[1,0]
	v_pk_fma_f32 v[234:235], v[230:231], s[14:15], v[232:233] op_sel:[0,0,1] op_sel_hi:[1,0,0]
	v_pk_fma_f32 v[232:233], v[230:231], s[14:15], v[232:233] op_sel:[0,0,1] op_sel_hi:[1,0,0] neg_lo:[0,0,1] neg_hi:[0,0,1]
	v_mov_b32_e32 v236, v234
	v_mov_b32_e32 v237, v233
	v_pk_add_f32 v[214:215], v[236:237], v[214:215]
	v_pk_add_f32 v[236:237], v[122:123], v[114:115]
	v_pk_add_f32 v[114:115], v[122:123], v[114:115] neg_lo:[0,1] neg_hi:[0,1]
	v_pk_fma_f32 v[244:245], v[70:71], s[14:15], v[242:243] op_sel:[0,0,1] op_sel_hi:[1,0,0]
	v_pk_mul_f32 v[122:123], v[114:115], s[22:23] op_sel_hi:[1,0]
	v_pk_fma_f32 v[242:243], v[70:71], s[14:15], v[242:243] op_sel:[0,0,1] op_sel_hi:[1,0,0] neg_lo:[0,0,1] neg_hi:[0,0,1]
	v_pk_fma_f32 v[238:239], v[236:237], s[20:21], v[122:123] op_sel:[0,0,1] op_sel_hi:[1,0,0]
	v_pk_fma_f32 v[122:123], v[236:237], s[20:21], v[122:123] op_sel:[0,0,1] op_sel_hi:[1,0,0] neg_lo:[0,0,1] neg_hi:[0,0,1]
	v_mov_b32_e32 v240, v238
	v_mov_b32_e32 v241, v123
	v_pk_add_f32 v[214:215], v[240:241], v[214:215]
	ds_write2_b64 v1, v[6:7], v[214:215] offset1:7
	v_pk_mul_f32 v[6:7], v[4:5], s[30:31] op_sel_hi:[1,0]
	v_mov_b32_e32 v246, v244
	v_pk_fma_f32 v[214:215], v[66:67], s[0:1], v[6:7] op_sel:[0,0,1] op_sel_hi:[1,0,0]
	v_pk_fma_f32 v[6:7], v[66:67], s[0:1], v[6:7] op_sel:[0,0,1] op_sel_hi:[1,0,0] neg_lo:[0,0,1] neg_hi:[0,0,1]
	v_mov_b32_e32 v240, v214
	v_mov_b32_e32 v241, v7
	v_pk_add_f32 v[240:241], v[216:217], v[240:241]
	v_mov_b32_e32 v247, v243
	s_mov_b32 s34, 0x3e903f40
	v_pk_add_f32 v[240:241], v[246:247], v[240:241]
	v_pk_mul_f32 v[246:247], v[68:69], s[34:35] op_sel_hi:[1,0]
	s_mov_b32 s28, 0x3f7d64f0
	v_pk_fma_f32 v[248:249], v[224:225], s[20:21], v[246:247] op_sel:[0,0,1] op_sel_hi:[1,0,0]
	v_pk_fma_f32 v[246:247], v[224:225], s[20:21], v[246:247] op_sel:[0,0,1] op_sel_hi:[1,0,0] neg_lo:[0,0,1] neg_hi:[0,0,1]
	v_mov_b32_e32 v250, v248
	v_mov_b32_e32 v251, v247
	v_pk_add_f32 v[240:241], v[250:251], v[240:241]
	v_pk_mul_f32 v[250:251], v[72:73], s[28:29] op_sel_hi:[1,0]
	s_mov_b32 s24, 0x3f0a6770
	v_pk_fma_f32 v[252:253], v[230:231], s[10:11], v[250:251] op_sel:[0,0,1] op_sel_hi:[1,0,0]
	v_pk_fma_f32 v[250:251], v[230:231], s[10:11], v[250:251] op_sel:[0,0,1] op_sel_hi:[1,0,0] neg_lo:[0,0,1] neg_hi:[0,0,1]
	v_mov_b32_e32 v254, v252
	v_mov_b32_e32 v255, v251
	v_pk_add_f32 v[240:241], v[254:255], v[240:241]
	v_pk_mul_f32 v[254:255], v[114:115], s[24:25] op_sel_hi:[1,0]
	v_pk_mul_f32 v[78:79], v[4:5], s[12:13] op_sel_hi:[1,0]
	v_pk_fma_f32 v[76:77], v[236:237], s[8:9], v[254:255] op_sel:[0,0,1] op_sel_hi:[1,0,0]
	v_pk_fma_f32 v[254:255], v[236:237], s[8:9], v[254:255] op_sel:[0,0,1] op_sel_hi:[1,0,0] neg_lo:[0,0,1] neg_hi:[0,0,1]
	v_mov_b32_e32 v14, v76
	v_mov_b32_e32 v15, v255
	v_pk_fma_f32 v[80:81], v[66:67], s[10:11], v[78:79] op_sel:[0,0,1] op_sel_hi:[1,0,0]
	v_pk_fma_f32 v[78:79], v[66:67], s[10:11], v[78:79] op_sel:[0,0,1] op_sel_hi:[1,0,0] neg_lo:[0,0,1] neg_hi:[0,0,1]
	v_pk_add_f32 v[14:15], v[14:15], v[240:241]
	v_mov_b32_e32 v240, v80
	v_mov_b32_e32 v241, v79
	v_pk_add_f32 v[82:83], v[216:217], v[240:241]
	v_pk_mul_f32 v[240:241], v[64:65], s[34:35] op_sel_hi:[1,0]
	v_pk_mul_f32 v[94:95], v[72:73], s[18:19] op_sel_hi:[1,0]
	v_pk_fma_f32 v[84:85], v[70:71], s[20:21], v[240:241] op_sel:[0,0,1] op_sel_hi:[1,0,0]
	v_pk_fma_f32 v[86:87], v[70:71], s[20:21], v[240:241] op_sel:[0,0,1] op_sel_hi:[1,0,0] neg_lo:[0,0,1] neg_hi:[0,0,1]
	v_mov_b32_e32 v240, v84
	v_mov_b32_e32 v241, v87
	v_pk_add_f32 v[82:83], v[240:241], v[82:83]
	v_pk_mul_f32 v[240:241], v[68:69], s[26:27] op_sel_hi:[1,0]
	v_pk_fma_f32 v[100:101], v[230:231], s[8:9], v[94:95] op_sel:[0,0,1] op_sel_hi:[1,0,0]
	v_pk_fma_f32 v[92:93], v[224:225], s[0:1], v[240:241] op_sel:[0,0,1] op_sel_hi:[1,0,0]
	v_pk_fma_f32 v[240:241], v[224:225], s[0:1], v[240:241] op_sel:[0,0,1] op_sel_hi:[1,0,0] neg_lo:[0,0,1] neg_hi:[0,0,1]
	v_mov_b32_e32 v96, v92
	v_mov_b32_e32 v97, v241
	v_pk_fma_f32 v[94:95], v[230:231], s[8:9], v[94:95] op_sel:[0,0,1] op_sel_hi:[1,0,0] neg_lo:[0,0,1] neg_hi:[0,0,1]
	v_pk_add_f32 v[82:83], v[96:97], v[82:83]
	v_mov_b32_e32 v96, v100
	v_mov_b32_e32 v97, v95
	v_pk_add_f32 v[82:83], v[96:97], v[82:83]
	v_pk_mul_f32 v[96:97], v[114:115], s[16:17] op_sel_hi:[1,0]
	v_pk_mul_f32 v[130:131], v[64:65], s[28:29] op_sel_hi:[1,0]
	v_pk_fma_f32 v[128:129], v[236:237], s[14:15], v[96:97] op_sel:[0,0,1] op_sel_hi:[1,0,0]
	v_pk_fma_f32 v[96:97], v[236:237], s[14:15], v[96:97] op_sel:[0,0,1] op_sel_hi:[1,0,0] neg_lo:[0,0,1] neg_hi:[0,0,1]
	v_mov_b32_e32 v102, v128
	v_mov_b32_e32 v103, v97
	v_pk_add_f32 v[82:83], v[102:103], v[82:83]
	ds_write2_b64 v1, v[14:15], v[82:83] offset0:14 offset1:21
	v_pk_mul_f32 v[14:15], v[4:5], s[16:17] op_sel_hi:[1,0]
	v_pk_fma_f32 v[132:133], v[70:71], s[10:11], v[130:131] op_sel:[0,0,1] op_sel_hi:[1,0,0]
	v_pk_fma_f32 v[82:83], v[66:67], s[14:15], v[14:15] op_sel:[0,0,1] op_sel_hi:[1,0,0]
	v_pk_fma_f32 v[14:15], v[66:67], s[14:15], v[14:15] op_sel:[0,0,1] op_sel_hi:[1,0,0] neg_lo:[0,0,1] neg_hi:[0,0,1]
	v_mov_b32_e32 v102, v82
	v_mov_b32_e32 v103, v15
	v_pk_fma_f32 v[130:131], v[70:71], s[10:11], v[130:131] op_sel:[0,0,1] op_sel_hi:[1,0,0] neg_lo:[0,0,1] neg_hi:[0,0,1]
	v_pk_add_f32 v[102:103], v[216:217], v[102:103]
	v_mov_b32_e32 v134, v132
	v_mov_b32_e32 v135, v131
	v_pk_add_f32 v[102:103], v[134:135], v[102:103]
	v_pk_mul_f32 v[134:135], v[68:69], s[18:19] op_sel_hi:[1,0]
	v_pk_mul_f32 v[4:5], v[4:5], s[22:23] op_sel_hi:[1,0]
	v_pk_fma_f32 v[136:137], v[224:225], s[8:9], v[134:135] op_sel:[0,0,1] op_sel_hi:[1,0,0]
	v_pk_fma_f32 v[134:135], v[224:225], s[8:9], v[134:135] op_sel:[0,0,1] op_sel_hi:[1,0,0] neg_lo:[0,0,1] neg_hi:[0,0,1]
	v_mov_b32_e32 v138, v136
	v_mov_b32_e32 v139, v135
	v_pk_add_f32 v[102:103], v[138:139], v[102:103]
	v_pk_mul_f32 v[138:139], v[72:73], s[22:23] op_sel_hi:[1,0]
	v_pk_mul_f32 v[64:65], v[64:65], s[24:25] op_sel_hi:[1,0]
	v_pk_fma_f32 v[140:141], v[230:231], s[20:21], v[138:139] op_sel:[0,0,1] op_sel_hi:[1,0,0]
	v_pk_fma_f32 v[138:139], v[230:231], s[20:21], v[138:139] op_sel:[0,0,1] op_sel_hi:[1,0,0] neg_lo:[0,0,1] neg_hi:[0,0,1]
	v_mov_b32_e32 v142, v140
	v_mov_b32_e32 v143, v139
	v_pk_add_f32 v[102:103], v[142:143], v[102:103]
	v_pk_mul_f32 v[142:143], v[114:115], s[26:27] op_sel_hi:[1,0]
	v_pk_fma_f32 v[148:149], v[70:71], s[8:9], v[64:65] op_sel:[0,0,1] op_sel_hi:[1,0,0]
	v_pk_fma_f32 v[144:145], v[236:237], s[0:1], v[142:143] op_sel:[0,0,1] op_sel_hi:[1,0,0]
	v_pk_fma_f32 v[142:143], v[236:237], s[0:1], v[142:143] op_sel:[0,0,1] op_sel_hi:[1,0,0] neg_lo:[0,0,1] neg_hi:[0,0,1]
	v_mov_b32_e32 v146, v144
	v_mov_b32_e32 v147, v143
	v_pk_add_f32 v[102:103], v[146:147], v[102:103]
	v_pk_fma_f32 v[146:147], v[66:67], s[20:21], v[4:5] op_sel:[0,0,1] op_sel_hi:[1,0,0]
	v_pk_fma_f32 v[4:5], v[66:67], s[20:21], v[4:5] op_sel:[0,0,1] op_sel_hi:[1,0,0] neg_lo:[0,0,1] neg_hi:[0,0,1]
	v_pk_fma_f32 v[64:65], v[70:71], s[8:9], v[64:65] op_sel:[0,0,1] op_sel_hi:[1,0,0] neg_lo:[0,0,1] neg_hi:[0,0,1]
	v_mov_b32_e32 v70, v146
	v_mov_b32_e32 v71, v5
	v_pk_add_f32 v[70:71], v[216:217], v[70:71]
	v_mov_b32_e32 v66, v148
	v_mov_b32_e32 v67, v65
	v_pk_mul_f32 v[68:69], v[68:69], s[16:17] op_sel_hi:[1,0]
	v_pk_add_f32 v[66:67], v[66:67], v[70:71]
	v_pk_fma_f32 v[70:71], v[224:225], s[14:15], v[68:69] op_sel:[0,0,1] op_sel_hi:[1,0,0]
	v_pk_fma_f32 v[68:69], v[224:225], s[14:15], v[68:69] op_sel:[0,0,1] op_sel_hi:[1,0,0] neg_lo:[0,0,1] neg_hi:[0,0,1]
	v_mov_b32_e32 v150, v70
	v_mov_b32_e32 v151, v69
	v_pk_mul_f32 v[72:73], v[72:73], s[26:27] op_sel_hi:[1,0]
	v_mov_b32_e32 v5, v147
	v_mov_b32_e32 v15, v83
	v_pk_add_f32 v[66:67], v[150:151], v[66:67]
	v_pk_fma_f32 v[150:151], v[230:231], s[0:1], v[72:73] op_sel:[0,0,1] op_sel_hi:[1,0,0]
	v_pk_fma_f32 v[72:73], v[230:231], s[0:1], v[72:73] op_sel:[0,0,1] op_sel_hi:[1,0,0] neg_lo:[0,0,1] neg_hi:[0,0,1]
	v_mov_b32_e32 v65, v149
	v_pk_add_f32 v[4:5], v[216:217], v[4:5]
	v_mov_b32_e32 v131, v133
	v_pk_add_f32 v[14:15], v[216:217], v[14:15]
	v_mov_b32_e32 v224, v150
	v_mov_b32_e32 v225, v73
	v_pk_mul_f32 v[114:115], v[114:115], s[12:13] op_sel_hi:[1,0]
	v_pk_add_f32 v[4:5], v[64:65], v[4:5]
	v_mov_b32_e32 v69, v71
	v_pk_add_f32 v[14:15], v[130:131], v[14:15]
	v_mov_b32_e32 v135, v137
	v_pk_add_f32 v[66:67], v[224:225], v[66:67]
	v_pk_fma_f32 v[224:225], v[236:237], s[10:11], v[114:115] op_sel:[0,0,1] op_sel_hi:[1,0,0]
	v_pk_fma_f32 v[114:115], v[236:237], s[10:11], v[114:115] op_sel:[0,0,1] op_sel_hi:[1,0,0] neg_lo:[0,0,1] neg_hi:[0,0,1]
	v_pk_add_f32 v[4:5], v[68:69], v[4:5]
	v_mov_b32_e32 v73, v151
	v_pk_add_f32 v[14:15], v[134:135], v[14:15]
	v_mov_b32_e32 v139, v141
	v_mov_b32_e32 v231, v115
	v_pk_add_f32 v[4:5], v[72:73], v[4:5]
	v_mov_b32_e32 v115, v225
	v_pk_add_f32 v[14:15], v[138:139], v[14:15]
	;; [unrolled: 2-line block ×3, first 2 shown]
	v_pk_add_f32 v[14:15], v[142:143], v[14:15]
	v_mov_b32_e32 v79, v81
	v_mov_b32_e32 v7, v215
	ds_write2_b64 v1, v[4:5], v[14:15] offset0:42 offset1:49
	v_mov_b32_e32 v87, v85
	v_pk_add_f32 v[4:5], v[216:217], v[78:79]
	v_mov_b32_e32 v243, v245
	v_pk_add_f32 v[6:7], v[216:217], v[6:7]
	v_pk_add_f32 v[4:5], v[86:87], v[4:5]
	v_mov_b32_e32 v241, v93
	v_pk_add_f32 v[6:7], v[242:243], v[6:7]
	v_mov_b32_e32 v247, v249
	;; [unrolled: 2-line block ×6, first 2 shown]
	v_pk_add_f32 v[4:5], v[96:97], v[4:5]
	v_pk_add_f32 v[6:7], v[254:255], v[6:7]
	v_mov_b32_e32 v75, v121
	ds_write2_b64 v1, v[4:5], v[6:7] offset0:56 offset1:63
	v_mov_b32_e32 v221, v223
	v_pk_add_f32 v[4:5], v[216:217], v[74:75]
	v_mov_b32_e32 v227, v229
	v_pk_add_f32 v[4:5], v[220:221], v[4:5]
	v_mov_b32_e32 v233, v235
	v_pk_add_f32 v[4:5], v[226:227], v[4:5]
	v_mov_b32_e32 v123, v239
	v_pk_add_f32 v[4:5], v[232:233], v[4:5]
	v_mov_b32_e32 v57, v59
	v_pk_add_f32 v[4:5], v[122:123], v[4:5]
	ds_write_b64 v1, v[4:5] offset:560
	v_mov_b32_e32 v53, v55
	v_pk_add_f32 v[4:5], v[218:219], v[56:57]
	v_mov_b32_e32 v91, v105
	v_pk_add_f32 v[4:5], v[4:5], v[52:53]
	;; [unrolled: 2-line block ×6, first 2 shown]
	v_mov_b32_e32 v63, v119
	v_mov_b32_e32 v125, v127
	v_pk_add_f32 v[4:5], v[4:5], v[60:61]
	v_mov_b32_e32 v11, v39
	v_pk_add_f32 v[4:5], v[4:5], v[62:63]
	v_pk_add_f32 v[14:15], v[56:57], v[124:125] neg_lo:[0,1] neg_hi:[0,1]
	v_pk_add_f32 v[4:5], v[4:5], v[10:11]
	v_pk_add_f32 v[6:7], v[56:57], v[124:125]
	v_pk_add_f32 v[38:39], v[52:53], v[10:11]
	v_pk_add_f32 v[10:11], v[52:53], v[10:11] neg_lo:[0,1] neg_hi:[0,1]
	v_pk_mul_f32 v[52:53], v[14:15], s[18:19] op_sel_hi:[1,0]
	v_mov_b32_e32 v230, v224
	v_pk_fma_f32 v[54:55], v[6:7], s[8:9], v[52:53] op_sel:[0,0,1] op_sel_hi:[1,0,0]
	v_pk_fma_f32 v[52:53], v[6:7], s[8:9], v[52:53] op_sel:[0,0,1] op_sel_hi:[1,0,0] neg_lo:[0,0,1] neg_hi:[0,0,1]
	v_pk_mul_f32 v[58:59], v[10:11], s[30:31] op_sel_hi:[1,0]
	v_pk_add_f32 v[66:67], v[230:231], v[66:67]
	v_mov_b32_e32 v56, v54
	v_mov_b32_e32 v57, v53
	v_pk_fma_f32 v[64:65], v[38:39], s[0:1], v[58:59] op_sel:[0,0,1] op_sel_hi:[1,0,0]
	v_pk_fma_f32 v[58:59], v[38:39], s[0:1], v[58:59] op_sel:[0,0,1] op_sel_hi:[1,0,0] neg_lo:[0,0,1] neg_hi:[0,0,1]
	ds_write2_b64 v1, v[102:103], v[66:67] offset0:28 offset1:35
	v_pk_add_f32 v[56:57], v[218:219], v[56:57]
	v_mov_b32_e32 v66, v64
	v_mov_b32_e32 v67, v59
	v_pk_add_f32 v[56:57], v[66:67], v[56:57]
	v_pk_add_f32 v[66:67], v[90:91], v[62:63]
	v_pk_add_f32 v[62:63], v[90:91], v[62:63] neg_lo:[0,1] neg_hi:[0,1]
	v_pk_add_f32 v[4:5], v[4:5], v[124:125]
	v_pk_mul_f32 v[68:69], v[62:63], s[12:13] op_sel_hi:[1,0]
	v_accvgpr_read_b32 v1, a129
	v_pk_fma_f32 v[70:71], v[66:67], s[10:11], v[68:69] op_sel:[0,0,1] op_sel_hi:[1,0,0]
	v_pk_fma_f32 v[68:69], v[66:67], s[10:11], v[68:69] op_sel:[0,0,1] op_sel_hi:[1,0,0] neg_lo:[0,0,1] neg_hi:[0,0,1]
	v_mov_b32_e32 v72, v70
	v_mov_b32_e32 v73, v69
	v_pk_add_f32 v[56:57], v[72:73], v[56:57]
	v_pk_add_f32 v[72:73], v[88:89], v[60:61]
	v_pk_add_f32 v[60:61], v[88:89], v[60:61] neg_lo:[0,1] neg_hi:[0,1]
	v_pk_mul_f32 v[86:87], v[10:11], s[16:17] op_sel_hi:[1,0]
	v_pk_mul_f32 v[74:75], v[60:61], s[16:17] op_sel_hi:[1,0]
	v_pk_fma_f32 v[88:89], v[38:39], s[14:15], v[86:87] op_sel:[0,0,1] op_sel_hi:[1,0,0]
	v_pk_fma_f32 v[76:77], v[72:73], s[14:15], v[74:75] op_sel:[0,0,1] op_sel_hi:[1,0,0]
	v_pk_fma_f32 v[74:75], v[72:73], s[14:15], v[74:75] op_sel:[0,0,1] op_sel_hi:[1,0,0] neg_lo:[0,0,1] neg_hi:[0,0,1]
	v_mov_b32_e32 v78, v76
	v_mov_b32_e32 v79, v75
	v_pk_add_f32 v[56:57], v[78:79], v[56:57]
	v_pk_add_f32 v[78:79], v[50:51], v[108:109]
	v_pk_add_f32 v[50:51], v[50:51], v[108:109] neg_lo:[0,1] neg_hi:[0,1]
	v_pk_fma_f32 v[86:87], v[38:39], s[14:15], v[86:87] op_sel:[0,0,1] op_sel_hi:[1,0,0] neg_lo:[0,0,1] neg_hi:[0,0,1]
	v_pk_mul_f32 v[80:81], v[50:51], s[22:23] op_sel_hi:[1,0]
	v_mov_b32_e32 v90, v88
	v_pk_fma_f32 v[82:83], v[78:79], s[20:21], v[80:81] op_sel:[0,0,1] op_sel_hi:[1,0,0]
	v_pk_fma_f32 v[80:81], v[78:79], s[20:21], v[80:81] op_sel:[0,0,1] op_sel_hi:[1,0,0] neg_lo:[0,0,1] neg_hi:[0,0,1]
	v_mov_b32_e32 v84, v82
	v_mov_b32_e32 v85, v81
	v_pk_add_f32 v[56:57], v[84:85], v[56:57]
	ds_write2_b64 v1, v[4:5], v[56:57] offset1:7
	v_pk_mul_f32 v[4:5], v[14:15], s[30:31] op_sel_hi:[1,0]
	v_mov_b32_e32 v91, v87
	v_pk_fma_f32 v[56:57], v[6:7], s[0:1], v[4:5] op_sel:[0,0,1] op_sel_hi:[1,0,0]
	v_pk_fma_f32 v[4:5], v[6:7], s[0:1], v[4:5] op_sel:[0,0,1] op_sel_hi:[1,0,0] neg_lo:[0,0,1] neg_hi:[0,0,1]
	v_mov_b32_e32 v84, v56
	v_mov_b32_e32 v85, v5
	v_pk_add_f32 v[84:85], v[218:219], v[84:85]
	v_pk_mul_f32 v[110:111], v[10:11], s[34:35] op_sel_hi:[1,0]
	v_pk_add_f32 v[84:85], v[90:91], v[84:85]
	v_pk_mul_f32 v[90:91], v[62:63], s[34:35] op_sel_hi:[1,0]
	v_pk_fma_f32 v[112:113], v[38:39], s[20:21], v[110:111] op_sel:[0,0,1] op_sel_hi:[1,0,0]
	v_pk_fma_f32 v[92:93], v[66:67], s[20:21], v[90:91] op_sel:[0,0,1] op_sel_hi:[1,0,0]
	v_pk_fma_f32 v[90:91], v[66:67], s[20:21], v[90:91] op_sel:[0,0,1] op_sel_hi:[1,0,0] neg_lo:[0,0,1] neg_hi:[0,0,1]
	v_mov_b32_e32 v94, v92
	v_mov_b32_e32 v95, v91
	v_pk_add_f32 v[84:85], v[94:95], v[84:85]
	v_pk_mul_f32 v[94:95], v[60:61], s[28:29] op_sel_hi:[1,0]
	v_pk_fma_f32 v[110:111], v[38:39], s[20:21], v[110:111] op_sel:[0,0,1] op_sel_hi:[1,0,0] neg_lo:[0,0,1] neg_hi:[0,0,1]
	v_pk_fma_f32 v[96:97], v[72:73], s[10:11], v[94:95] op_sel:[0,0,1] op_sel_hi:[1,0,0]
	v_pk_fma_f32 v[94:95], v[72:73], s[10:11], v[94:95] op_sel:[0,0,1] op_sel_hi:[1,0,0] neg_lo:[0,0,1] neg_hi:[0,0,1]
	v_mov_b32_e32 v100, v96
	v_mov_b32_e32 v101, v95
	v_pk_add_f32 v[84:85], v[100:101], v[84:85]
	v_pk_mul_f32 v[100:101], v[50:51], s[24:25] op_sel_hi:[1,0]
	v_mov_b32_e32 v114, v112
	v_pk_fma_f32 v[102:103], v[78:79], s[8:9], v[100:101] op_sel:[0,0,1] op_sel_hi:[1,0,0]
	v_pk_fma_f32 v[100:101], v[78:79], s[8:9], v[100:101] op_sel:[0,0,1] op_sel_hi:[1,0,0] neg_lo:[0,0,1] neg_hi:[0,0,1]
	v_mov_b32_e32 v104, v102
	v_mov_b32_e32 v105, v101
	v_pk_add_f32 v[84:85], v[104:105], v[84:85]
	v_pk_mul_f32 v[104:105], v[14:15], s[12:13] op_sel_hi:[1,0]
	v_mov_b32_e32 v115, v111
	v_pk_fma_f32 v[106:107], v[6:7], s[10:11], v[104:105] op_sel:[0,0,1] op_sel_hi:[1,0,0]
	v_pk_fma_f32 v[104:105], v[6:7], s[10:11], v[104:105] op_sel:[0,0,1] op_sel_hi:[1,0,0] neg_lo:[0,0,1] neg_hi:[0,0,1]
	v_mov_b32_e32 v108, v106
	v_mov_b32_e32 v109, v105
	v_pk_add_f32 v[108:109], v[218:219], v[108:109]
	v_pk_mul_f32 v[128:129], v[10:11], s[28:29] op_sel_hi:[1,0]
	v_pk_add_f32 v[108:109], v[114:115], v[108:109]
	v_pk_mul_f32 v[114:115], v[62:63], s[26:27] op_sel_hi:[1,0]
	v_pk_fma_f32 v[130:131], v[38:39], s[10:11], v[128:129] op_sel:[0,0,1] op_sel_hi:[1,0,0]
	v_pk_fma_f32 v[116:117], v[66:67], s[0:1], v[114:115] op_sel:[0,0,1] op_sel_hi:[1,0,0]
	v_pk_fma_f32 v[114:115], v[66:67], s[0:1], v[114:115] op_sel:[0,0,1] op_sel_hi:[1,0,0] neg_lo:[0,0,1] neg_hi:[0,0,1]
	v_mov_b32_e32 v118, v116
	v_mov_b32_e32 v119, v115
	v_pk_add_f32 v[108:109], v[118:119], v[108:109]
	v_pk_mul_f32 v[118:119], v[60:61], s[18:19] op_sel_hi:[1,0]
	v_pk_fma_f32 v[128:129], v[38:39], s[10:11], v[128:129] op_sel:[0,0,1] op_sel_hi:[1,0,0] neg_lo:[0,0,1] neg_hi:[0,0,1]
	v_pk_fma_f32 v[120:121], v[72:73], s[8:9], v[118:119] op_sel:[0,0,1] op_sel_hi:[1,0,0]
	v_pk_fma_f32 v[118:119], v[72:73], s[8:9], v[118:119] op_sel:[0,0,1] op_sel_hi:[1,0,0] neg_lo:[0,0,1] neg_hi:[0,0,1]
	v_mov_b32_e32 v122, v120
	v_mov_b32_e32 v123, v119
	v_pk_add_f32 v[108:109], v[122:123], v[108:109]
	v_pk_mul_f32 v[122:123], v[50:51], s[16:17] op_sel_hi:[1,0]
	v_mov_b32_e32 v132, v130
	v_pk_fma_f32 v[124:125], v[78:79], s[14:15], v[122:123] op_sel:[0,0,1] op_sel_hi:[1,0,0]
	v_pk_fma_f32 v[122:123], v[78:79], s[14:15], v[122:123] op_sel:[0,0,1] op_sel_hi:[1,0,0] neg_lo:[0,0,1] neg_hi:[0,0,1]
	v_mov_b32_e32 v126, v124
	v_mov_b32_e32 v127, v123
	v_pk_add_f32 v[108:109], v[126:127], v[108:109]
	ds_write2_b64 v1, v[84:85], v[108:109] offset0:14 offset1:21
	v_pk_mul_f32 v[84:85], v[14:15], s[16:17] op_sel_hi:[1,0]
	v_mov_b32_e32 v133, v129
	v_pk_fma_f32 v[108:109], v[6:7], s[14:15], v[84:85] op_sel:[0,0,1] op_sel_hi:[1,0,0]
	v_pk_fma_f32 v[84:85], v[6:7], s[14:15], v[84:85] op_sel:[0,0,1] op_sel_hi:[1,0,0] neg_lo:[0,0,1] neg_hi:[0,0,1]
	v_mov_b32_e32 v126, v108
	v_mov_b32_e32 v127, v85
	v_pk_add_f32 v[126:127], v[218:219], v[126:127]
	v_pk_mul_f32 v[14:15], v[14:15], s[22:23] op_sel_hi:[1,0]
	v_pk_add_f32 v[126:127], v[132:133], v[126:127]
	v_pk_mul_f32 v[132:133], v[62:63], s[18:19] op_sel_hi:[1,0]
	v_pk_mul_f32 v[10:11], v[10:11], s[24:25] op_sel_hi:[1,0]
	v_pk_fma_f32 v[134:135], v[66:67], s[8:9], v[132:133] op_sel:[0,0,1] op_sel_hi:[1,0,0]
	v_pk_fma_f32 v[132:133], v[66:67], s[8:9], v[132:133] op_sel:[0,0,1] op_sel_hi:[1,0,0] neg_lo:[0,0,1] neg_hi:[0,0,1]
	v_mov_b32_e32 v136, v134
	v_mov_b32_e32 v137, v133
	v_pk_add_f32 v[126:127], v[136:137], v[126:127]
	v_pk_mul_f32 v[136:137], v[60:61], s[22:23] op_sel_hi:[1,0]
	v_pk_mul_f32 v[62:63], v[62:63], s[16:17] op_sel_hi:[1,0]
	v_pk_fma_f32 v[138:139], v[72:73], s[20:21], v[136:137] op_sel:[0,0,1] op_sel_hi:[1,0,0]
	v_pk_fma_f32 v[136:137], v[72:73], s[20:21], v[136:137] op_sel:[0,0,1] op_sel_hi:[1,0,0] neg_lo:[0,0,1] neg_hi:[0,0,1]
	v_mov_b32_e32 v140, v138
	v_mov_b32_e32 v141, v137
	;; [unrolled: 7-line block ×3, first 2 shown]
	v_pk_add_f32 v[126:127], v[144:145], v[126:127]
	v_pk_fma_f32 v[144:145], v[6:7], s[20:21], v[14:15] op_sel:[0,0,1] op_sel_hi:[1,0,0]
	v_pk_fma_f32 v[6:7], v[6:7], s[20:21], v[14:15] op_sel:[0,0,1] op_sel_hi:[1,0,0] neg_lo:[0,0,1] neg_hi:[0,0,1]
	v_pk_fma_f32 v[14:15], v[38:39], s[8:9], v[10:11] op_sel:[0,0,1] op_sel_hi:[1,0,0]
	v_pk_fma_f32 v[10:11], v[38:39], s[8:9], v[10:11] op_sel:[0,0,1] op_sel_hi:[1,0,0] neg_lo:[0,0,1] neg_hi:[0,0,1]
	v_mov_b32_e32 v38, v144
	v_mov_b32_e32 v39, v7
	v_pk_add_f32 v[38:39], v[218:219], v[38:39]
	v_mov_b32_e32 v146, v14
	v_mov_b32_e32 v147, v11
	v_pk_add_f32 v[38:39], v[146:147], v[38:39]
	v_pk_fma_f32 v[146:147], v[66:67], s[14:15], v[62:63] op_sel:[0,0,1] op_sel_hi:[1,0,0]
	v_pk_fma_f32 v[62:63], v[66:67], s[14:15], v[62:63] op_sel:[0,0,1] op_sel_hi:[1,0,0] neg_lo:[0,0,1] neg_hi:[0,0,1]
	v_mov_b32_e32 v7, v145
	v_mov_b32_e32 v66, v146
	;; [unrolled: 1-line block ×4, first 2 shown]
	v_pk_add_f32 v[6:7], v[218:219], v[6:7]
	v_mov_b32_e32 v85, v109
	v_pk_add_f32 v[38:39], v[66:67], v[38:39]
	v_pk_fma_f32 v[66:67], v[72:73], s[0:1], v[60:61] op_sel:[0,0,1] op_sel_hi:[1,0,0]
	v_pk_fma_f32 v[60:61], v[72:73], s[0:1], v[60:61] op_sel:[0,0,1] op_sel_hi:[1,0,0] neg_lo:[0,0,1] neg_hi:[0,0,1]
	v_pk_add_f32 v[6:7], v[10:11], v[6:7]
	v_mov_b32_e32 v129, v131
	v_pk_add_f32 v[10:11], v[218:219], v[84:85]
	v_mov_b32_e32 v72, v66
	v_mov_b32_e32 v73, v61
	v_pk_mul_f32 v[50:51], v[50:51], s[12:13] op_sel_hi:[1,0]
	v_mov_b32_e32 v63, v147
	v_pk_add_f32 v[10:11], v[128:129], v[10:11]
	v_mov_b32_e32 v133, v135
	v_pk_add_f32 v[38:39], v[72:73], v[38:39]
	v_pk_fma_f32 v[72:73], v[78:79], s[10:11], v[50:51] op_sel:[0,0,1] op_sel_hi:[1,0,0]
	v_pk_fma_f32 v[50:51], v[78:79], s[10:11], v[50:51] op_sel:[0,0,1] op_sel_hi:[1,0,0] neg_lo:[0,0,1] neg_hi:[0,0,1]
	v_pk_add_f32 v[6:7], v[62:63], v[6:7]
	v_mov_b32_e32 v61, v67
	v_pk_add_f32 v[10:11], v[132:133], v[10:11]
	v_mov_b32_e32 v137, v139
	v_mov_b32_e32 v79, v51
	v_pk_add_f32 v[6:7], v[60:61], v[6:7]
	v_mov_b32_e32 v51, v73
	v_pk_add_f32 v[10:11], v[136:137], v[10:11]
	v_mov_b32_e32 v141, v143
	v_pk_add_f32 v[6:7], v[50:51], v[6:7]
	v_pk_add_f32 v[10:11], v[140:141], v[10:11]
	v_mov_b32_e32 v105, v107
	v_mov_b32_e32 v5, v57
	ds_write2_b64 v1, v[6:7], v[10:11] offset0:42 offset1:49
	v_mov_b32_e32 v111, v113
	v_pk_add_f32 v[6:7], v[218:219], v[104:105]
	v_mov_b32_e32 v87, v89
	v_pk_add_f32 v[4:5], v[218:219], v[4:5]
	v_pk_add_f32 v[6:7], v[110:111], v[6:7]
	v_mov_b32_e32 v115, v117
	v_pk_add_f32 v[4:5], v[86:87], v[4:5]
	v_mov_b32_e32 v91, v93
	;; [unrolled: 2-line block ×6, first 2 shown]
	v_pk_add_f32 v[6:7], v[122:123], v[6:7]
	v_pk_add_f32 v[4:5], v[100:101], v[4:5]
	v_mov_b32_e32 v53, v55
	ds_write2_b64 v1, v[6:7], v[4:5] offset0:56 offset1:63
	v_pk_add_f32 v[4:5], v[218:219], v[52:53]
	v_mov_b32_e32 v59, v65
	v_pk_add_f32 v[4:5], v[58:59], v[4:5]
	v_mov_b32_e32 v69, v71
	;; [unrolled: 2-line block ×5, first 2 shown]
	ds_write_b64 v1, v[4:5] offset:560
	v_mov_b32_e32 v35, v49
	v_pk_add_f32 v[4:5], v[212:213], v[40:41]
	v_mov_b32_e32 v25, v47
	v_pk_add_f32 v[4:5], v[4:5], v[34:35]
	;; [unrolled: 2-line block ×3, first 2 shown]
	v_mov_b32_e32 v78, v72
	v_mov_b32_e32 v21, v33
	v_pk_add_f32 v[4:5], v[4:5], v[22:23]
	v_pk_add_f32 v[38:39], v[78:79], v[38:39]
	v_mov_b32_e32 v17, v31
	v_pk_add_f32 v[4:5], v[4:5], v[20:21]
	ds_write2_b64 v1, v[126:127], v[38:39] offset0:28 offset1:35
	v_mov_b32_e32 v1, v27
	v_pk_add_f32 v[4:5], v[4:5], v[16:17]
	v_mov_b32_e32 v3, v29
	v_pk_add_f32 v[4:5], v[4:5], v[0:1]
	;; [unrolled: 2-line block ×3, first 2 shown]
	v_pk_add_f32 v[30:31], v[40:41], v[18:19] neg_lo:[0,1] neg_hi:[0,1]
	v_pk_add_f32 v[4:5], v[4:5], v[8:9]
	v_pk_add_f32 v[14:15], v[40:41], v[18:19]
	;; [unrolled: 1-line block ×3, first 2 shown]
	v_pk_mul_f32 v[4:5], v[30:31], s[18:19] op_sel_hi:[1,0]
	v_pk_add_f32 v[32:33], v[34:35], v[8:9]
	v_pk_add_f32 v[34:35], v[34:35], v[8:9] neg_lo:[0,1] neg_hi:[0,1]
	v_pk_fma_f32 v[26:27], v[14:15], s[8:9], v[4:5] op_sel:[0,0,1] op_sel_hi:[1,0,0]
	v_pk_fma_f32 v[28:29], v[14:15], s[8:9], v[4:5] op_sel:[0,0,1] op_sel_hi:[1,0,0] neg_lo:[0,0,1] neg_hi:[0,0,1]
	v_mov_b32_e32 v4, v26
	v_mov_b32_e32 v5, v29
	v_pk_mul_f32 v[6:7], v[34:35], s[30:31] op_sel_hi:[1,0]
	v_pk_add_f32 v[8:9], v[212:213], v[4:5]
	v_pk_fma_f32 v[4:5], v[32:33], s[0:1], v[6:7] op_sel:[0,0,1] op_sel_hi:[1,0,0]
	v_pk_fma_f32 v[6:7], v[32:33], s[0:1], v[6:7] op_sel:[0,0,1] op_sel_hi:[1,0,0] neg_lo:[0,0,1] neg_hi:[0,0,1]
	v_mov_b32_e32 v18, v4
	v_mov_b32_e32 v19, v7
	v_pk_add_f32 v[38:39], v[24:25], v[2:3]
	v_pk_add_f32 v[24:25], v[24:25], v[2:3] neg_lo:[0,1] neg_hi:[0,1]
	v_pk_add_f32 v[18:19], v[18:19], v[8:9]
	v_pk_mul_f32 v[8:9], v[24:25], s[12:13] op_sel_hi:[1,0]
	v_pk_add_f32 v[42:43], v[22:23], v[0:1]
	v_pk_fma_f32 v[2:3], v[38:39], s[10:11], v[8:9] op_sel:[0,0,1] op_sel_hi:[1,0,0]
	v_pk_fma_f32 v[8:9], v[38:39], s[10:11], v[8:9] op_sel:[0,0,1] op_sel_hi:[1,0,0] neg_lo:[0,0,1] neg_hi:[0,0,1]
	v_mov_b32_e32 v40, v2
	v_mov_b32_e32 v41, v9
	v_pk_add_f32 v[22:23], v[22:23], v[0:1] neg_lo:[0,1] neg_hi:[0,1]
	v_pk_add_f32 v[40:41], v[40:41], v[18:19]
	v_pk_mul_f32 v[18:19], v[22:23], s[16:17] op_sel_hi:[1,0]
	v_pk_add_f32 v[46:47], v[20:21], v[16:17] neg_lo:[0,1] neg_hi:[0,1]
	v_pk_fma_f32 v[0:1], v[42:43], s[14:15], v[18:19] op_sel:[0,0,1] op_sel_hi:[1,0,0]
	v_pk_fma_f32 v[18:19], v[42:43], s[14:15], v[18:19] op_sel:[0,0,1] op_sel_hi:[1,0,0] neg_lo:[0,0,1] neg_hi:[0,0,1]
	v_mov_b32_e32 v44, v0
	v_mov_b32_e32 v45, v19
	v_pk_add_f32 v[40:41], v[44:45], v[40:41]
	v_pk_add_f32 v[44:45], v[20:21], v[16:17]
	v_pk_mul_f32 v[20:21], v[46:47], s[22:23] op_sel_hi:[1,0]
	v_accvgpr_read_b32 v13, a11
	v_pk_fma_f32 v[16:17], v[44:45], s[20:21], v[20:21] op_sel:[0,0,1] op_sel_hi:[1,0,0]
	v_pk_fma_f32 v[20:21], v[44:45], s[20:21], v[20:21] op_sel:[0,0,1] op_sel_hi:[1,0,0] neg_lo:[0,0,1] neg_hi:[0,0,1]
	v_mov_b32_e32 v48, v16
	v_mov_b32_e32 v49, v21
	v_pk_add_f32 v[40:41], v[48:49], v[40:41]
	ds_write2_b64 v13, v[10:11], v[40:41] offset1:7
	v_pk_mul_f32 v[10:11], v[30:31], s[30:31] op_sel_hi:[1,0]
	v_pk_mul_f32 v[50:51], v[34:35], s[16:17] op_sel_hi:[1,0]
	v_pk_fma_f32 v[40:41], v[14:15], s[0:1], v[10:11] op_sel:[0,0,1] op_sel_hi:[1,0,0]
	v_pk_fma_f32 v[10:11], v[14:15], s[0:1], v[10:11] op_sel:[0,0,1] op_sel_hi:[1,0,0] neg_lo:[0,0,1] neg_hi:[0,0,1]
	v_mov_b32_e32 v48, v40
	v_mov_b32_e32 v49, v11
	v_pk_fma_f32 v[52:53], v[32:33], s[14:15], v[50:51] op_sel:[0,0,1] op_sel_hi:[1,0,0]
	v_pk_fma_f32 v[50:51], v[32:33], s[14:15], v[50:51] op_sel:[0,0,1] op_sel_hi:[1,0,0] neg_lo:[0,0,1] neg_hi:[0,0,1]
	v_pk_add_f32 v[48:49], v[212:213], v[48:49]
	v_mov_b32_e32 v54, v52
	v_mov_b32_e32 v55, v51
	v_pk_add_f32 v[48:49], v[54:55], v[48:49]
	v_pk_mul_f32 v[54:55], v[24:25], s[34:35] op_sel_hi:[1,0]
	v_pk_mul_f32 v[72:73], v[34:35], s[34:35] op_sel_hi:[1,0]
	v_pk_fma_f32 v[56:57], v[38:39], s[20:21], v[54:55] op_sel:[0,0,1] op_sel_hi:[1,0,0]
	v_pk_fma_f32 v[54:55], v[38:39], s[20:21], v[54:55] op_sel:[0,0,1] op_sel_hi:[1,0,0] neg_lo:[0,0,1] neg_hi:[0,0,1]
	v_mov_b32_e32 v58, v56
	v_mov_b32_e32 v59, v55
	v_pk_add_f32 v[48:49], v[58:59], v[48:49]
	v_pk_mul_f32 v[58:59], v[22:23], s[28:29] op_sel_hi:[1,0]
	v_pk_fma_f32 v[74:75], v[32:33], s[20:21], v[72:73] op_sel:[0,0,1] op_sel_hi:[1,0,0]
	v_pk_fma_f32 v[60:61], v[42:43], s[10:11], v[58:59] op_sel:[0,0,1] op_sel_hi:[1,0,0]
	v_pk_fma_f32 v[58:59], v[42:43], s[10:11], v[58:59] op_sel:[0,0,1] op_sel_hi:[1,0,0] neg_lo:[0,0,1] neg_hi:[0,0,1]
	v_mov_b32_e32 v62, v60
	v_mov_b32_e32 v63, v59
	v_pk_add_f32 v[48:49], v[62:63], v[48:49]
	v_pk_mul_f32 v[62:63], v[46:47], s[24:25] op_sel_hi:[1,0]
	v_pk_fma_f32 v[72:73], v[32:33], s[20:21], v[72:73] op_sel:[0,0,1] op_sel_hi:[1,0,0] neg_lo:[0,0,1] neg_hi:[0,0,1]
	v_pk_fma_f32 v[64:65], v[44:45], s[8:9], v[62:63] op_sel:[0,0,1] op_sel_hi:[1,0,0]
	v_pk_fma_f32 v[62:63], v[44:45], s[8:9], v[62:63] op_sel:[0,0,1] op_sel_hi:[1,0,0] neg_lo:[0,0,1] neg_hi:[0,0,1]
	v_mov_b32_e32 v66, v64
	v_mov_b32_e32 v67, v63
	v_pk_add_f32 v[48:49], v[66:67], v[48:49]
	v_pk_mul_f32 v[66:67], v[30:31], s[12:13] op_sel_hi:[1,0]
	v_mov_b32_e32 v76, v74
	v_pk_fma_f32 v[68:69], v[14:15], s[10:11], v[66:67] op_sel:[0,0,1] op_sel_hi:[1,0,0]
	v_pk_fma_f32 v[66:67], v[14:15], s[10:11], v[66:67] op_sel:[0,0,1] op_sel_hi:[1,0,0] neg_lo:[0,0,1] neg_hi:[0,0,1]
	v_mov_b32_e32 v70, v68
	v_mov_b32_e32 v71, v67
	v_pk_add_f32 v[70:71], v[212:213], v[70:71]
	v_mov_b32_e32 v77, v73
	v_pk_add_f32 v[70:71], v[76:77], v[70:71]
	v_pk_mul_f32 v[76:77], v[24:25], s[26:27] op_sel_hi:[1,0]
	v_pk_mul_f32 v[90:91], v[34:35], s[28:29] op_sel_hi:[1,0]
	v_pk_fma_f32 v[78:79], v[38:39], s[0:1], v[76:77] op_sel:[0,0,1] op_sel_hi:[1,0,0]
	v_pk_fma_f32 v[76:77], v[38:39], s[0:1], v[76:77] op_sel:[0,0,1] op_sel_hi:[1,0,0] neg_lo:[0,0,1] neg_hi:[0,0,1]
	v_mov_b32_e32 v80, v78
	v_mov_b32_e32 v81, v77
	v_pk_add_f32 v[70:71], v[80:81], v[70:71]
	v_pk_mul_f32 v[80:81], v[22:23], s[18:19] op_sel_hi:[1,0]
	v_pk_fma_f32 v[92:93], v[32:33], s[10:11], v[90:91] op_sel:[0,0,1] op_sel_hi:[1,0,0]
	v_pk_fma_f32 v[82:83], v[42:43], s[8:9], v[80:81] op_sel:[0,0,1] op_sel_hi:[1,0,0]
	v_pk_fma_f32 v[80:81], v[42:43], s[8:9], v[80:81] op_sel:[0,0,1] op_sel_hi:[1,0,0] neg_lo:[0,0,1] neg_hi:[0,0,1]
	v_mov_b32_e32 v84, v82
	v_mov_b32_e32 v85, v81
	v_pk_add_f32 v[70:71], v[84:85], v[70:71]
	v_pk_mul_f32 v[84:85], v[46:47], s[16:17] op_sel_hi:[1,0]
	v_pk_fma_f32 v[90:91], v[32:33], s[10:11], v[90:91] op_sel:[0,0,1] op_sel_hi:[1,0,0] neg_lo:[0,0,1] neg_hi:[0,0,1]
	v_pk_fma_f32 v[86:87], v[44:45], s[14:15], v[84:85] op_sel:[0,0,1] op_sel_hi:[1,0,0]
	v_pk_fma_f32 v[84:85], v[44:45], s[14:15], v[84:85] op_sel:[0,0,1] op_sel_hi:[1,0,0] neg_lo:[0,0,1] neg_hi:[0,0,1]
	v_mov_b32_e32 v88, v86
	v_mov_b32_e32 v89, v85
	v_pk_add_f32 v[70:71], v[88:89], v[70:71]
	ds_write2_b64 v13, v[48:49], v[70:71] offset0:14 offset1:21
	v_pk_mul_f32 v[48:49], v[30:31], s[16:17] op_sel_hi:[1,0]
	v_mov_b32_e32 v94, v92
	v_pk_fma_f32 v[70:71], v[14:15], s[14:15], v[48:49] op_sel:[0,0,1] op_sel_hi:[1,0,0]
	v_pk_fma_f32 v[48:49], v[14:15], s[14:15], v[48:49] op_sel:[0,0,1] op_sel_hi:[1,0,0] neg_lo:[0,0,1] neg_hi:[0,0,1]
	v_mov_b32_e32 v88, v70
	v_mov_b32_e32 v89, v49
	v_pk_add_f32 v[88:89], v[212:213], v[88:89]
	v_mov_b32_e32 v95, v91
	v_pk_add_f32 v[88:89], v[94:95], v[88:89]
	v_pk_mul_f32 v[94:95], v[24:25], s[18:19] op_sel_hi:[1,0]
	v_pk_mul_f32 v[30:31], v[30:31], s[22:23] op_sel_hi:[1,0]
	v_pk_fma_f32 v[96:97], v[38:39], s[8:9], v[94:95] op_sel:[0,0,1] op_sel_hi:[1,0,0]
	v_pk_fma_f32 v[94:95], v[38:39], s[8:9], v[94:95] op_sel:[0,0,1] op_sel_hi:[1,0,0] neg_lo:[0,0,1] neg_hi:[0,0,1]
	v_mov_b32_e32 v98, v96
	v_mov_b32_e32 v99, v95
	v_pk_add_f32 v[88:89], v[98:99], v[88:89]
	v_pk_mul_f32 v[98:99], v[22:23], s[22:23] op_sel_hi:[1,0]
	v_pk_mul_f32 v[24:25], v[24:25], s[16:17] op_sel_hi:[1,0]
	v_pk_fma_f32 v[100:101], v[42:43], s[20:21], v[98:99] op_sel:[0,0,1] op_sel_hi:[1,0,0]
	v_pk_fma_f32 v[98:99], v[42:43], s[20:21], v[98:99] op_sel:[0,0,1] op_sel_hi:[1,0,0] neg_lo:[0,0,1] neg_hi:[0,0,1]
	v_mov_b32_e32 v102, v100
	;; [unrolled: 7-line block ×3, first 2 shown]
	v_mov_b32_e32 v107, v103
	v_pk_add_f32 v[88:89], v[106:107], v[88:89]
	v_pk_fma_f32 v[106:107], v[14:15], s[20:21], v[30:31] op_sel:[0,0,1] op_sel_hi:[1,0,0]
	v_pk_fma_f32 v[14:15], v[14:15], s[20:21], v[30:31] op_sel:[0,0,1] op_sel_hi:[1,0,0] neg_lo:[0,0,1] neg_hi:[0,0,1]
	v_pk_mul_f32 v[30:31], v[34:35], s[24:25] op_sel_hi:[1,0]
	v_mov_b32_e32 v49, v71
	v_pk_fma_f32 v[34:35], v[32:33], s[8:9], v[30:31] op_sel:[0,0,1] op_sel_hi:[1,0,0]
	v_pk_fma_f32 v[30:31], v[32:33], s[8:9], v[30:31] op_sel:[0,0,1] op_sel_hi:[1,0,0] neg_lo:[0,0,1] neg_hi:[0,0,1]
	v_mov_b32_e32 v32, v106
	v_mov_b32_e32 v33, v15
	v_pk_add_f32 v[32:33], v[212:213], v[32:33]
	v_mov_b32_e32 v108, v34
	v_mov_b32_e32 v109, v31
	v_pk_add_f32 v[32:33], v[108:109], v[32:33]
	v_pk_fma_f32 v[108:109], v[38:39], s[14:15], v[24:25] op_sel:[0,0,1] op_sel_hi:[1,0,0]
	v_pk_fma_f32 v[24:25], v[38:39], s[14:15], v[24:25] op_sel:[0,0,1] op_sel_hi:[1,0,0] neg_lo:[0,0,1] neg_hi:[0,0,1]
	v_mov_b32_e32 v15, v107
	v_mov_b32_e32 v38, v108
	;; [unrolled: 1-line block ×4, first 2 shown]
	v_pk_add_f32 v[14:15], v[212:213], v[14:15]
	v_pk_add_f32 v[32:33], v[38:39], v[32:33]
	v_pk_fma_f32 v[38:39], v[42:43], s[0:1], v[22:23] op_sel:[0,0,1] op_sel_hi:[1,0,0]
	v_pk_fma_f32 v[22:23], v[42:43], s[0:1], v[22:23] op_sel:[0,0,1] op_sel_hi:[1,0,0] neg_lo:[0,0,1] neg_hi:[0,0,1]
	v_pk_add_f32 v[14:15], v[30:31], v[14:15]
	v_mov_b32_e32 v25, v109
	v_mov_b32_e32 v43, v23
	v_pk_add_f32 v[14:15], v[24:25], v[14:15]
	v_mov_b32_e32 v23, v39
	v_mov_b32_e32 v42, v38
	v_pk_add_f32 v[14:15], v[22:23], v[14:15]
	v_mov_b32_e32 v91, v93
	v_pk_add_f32 v[22:23], v[212:213], v[48:49]
	v_pk_add_f32 v[32:33], v[42:43], v[32:33]
	v_pk_mul_f32 v[42:43], v[46:47], s[12:13] op_sel_hi:[1,0]
	v_pk_add_f32 v[22:23], v[90:91], v[22:23]
	v_mov_b32_e32 v95, v97
	v_pk_fma_f32 v[46:47], v[44:45], s[10:11], v[42:43] op_sel:[0,0,1] op_sel_hi:[1,0,0]
	v_pk_fma_f32 v[42:43], v[44:45], s[10:11], v[42:43] op_sel:[0,0,1] op_sel_hi:[1,0,0] neg_lo:[0,0,1] neg_hi:[0,0,1]
	v_pk_add_f32 v[22:23], v[94:95], v[22:23]
	v_mov_b32_e32 v99, v101
	v_mov_b32_e32 v45, v43
	;; [unrolled: 1-line block ×3, first 2 shown]
	v_pk_add_f32 v[22:23], v[98:99], v[22:23]
	v_mov_b32_e32 v103, v105
	v_pk_add_f32 v[14:15], v[42:43], v[14:15]
	v_pk_add_f32 v[22:23], v[102:103], v[22:23]
	v_mov_b32_e32 v67, v69
	v_mov_b32_e32 v11, v41
	ds_write2_b64 v13, v[14:15], v[22:23] offset0:42 offset1:49
	v_mov_b32_e32 v73, v75
	v_pk_add_f32 v[14:15], v[212:213], v[66:67]
	v_mov_b32_e32 v51, v53
	v_pk_add_f32 v[10:11], v[212:213], v[10:11]
	v_pk_add_f32 v[14:15], v[72:73], v[14:15]
	v_mov_b32_e32 v77, v79
	v_pk_add_f32 v[10:11], v[50:51], v[10:11]
	v_mov_b32_e32 v55, v57
	;; [unrolled: 2-line block ×6, first 2 shown]
	v_pk_add_f32 v[14:15], v[84:85], v[14:15]
	v_pk_add_f32 v[10:11], v[62:63], v[10:11]
	v_mov_b32_e32 v29, v27
	ds_write2_b64 v13, v[14:15], v[10:11] offset0:56 offset1:63
	v_pk_add_f32 v[10:11], v[212:213], v[28:29]
	v_mov_b32_e32 v7, v5
	v_pk_add_f32 v[4:5], v[6:7], v[10:11]
	v_mov_b32_e32 v9, v3
	v_mov_b32_e32 v44, v46
	v_pk_add_f32 v[2:3], v[8:9], v[4:5]
	v_mov_b32_e32 v19, v1
	v_pk_add_f32 v[32:33], v[44:45], v[32:33]
	v_accvgpr_read_b32 v122, a110
	v_accvgpr_read_b32 v124, a112
	;; [unrolled: 1-line block ×18, first 2 shown]
	v_accvgpr_mov_b32 a47, a46
	v_accvgpr_mov_b32 a36, a46
	;; [unrolled: 1-line block ×38, first 2 shown]
	v_pk_add_f32 v[0:1], v[18:19], v[2:3]
	v_mov_b32_e32 v21, v17
	ds_write2_b64 v13, v[88:89], v[32:33] offset0:28 offset1:35
	v_accvgpr_read_b32 v68, a54
	v_accvgpr_read_b32 v69, a54
	;; [unrolled: 1-line block ×16, first 2 shown]
	v_mov_b32_e32 v177, v176
	v_accvgpr_read_b32 v52, a30
	v_accvgpr_read_b32 v53, a30
	v_mov_b32_e32 v179, v178
	v_accvgpr_read_b32 v14, a252
	v_accvgpr_read_b32 v15, a252
	v_accvgpr_read_b32 v228, a166
	v_accvgpr_read_b32 v230, a168
	v_accvgpr_read_b32 v229, a166
	v_accvgpr_read_b32 v44, a38
	v_accvgpr_read_b32 v45, a38
	v_accvgpr_read_b32 v231, a168
	v_accvgpr_read_b32 v34, a220
	v_accvgpr_read_b32 v35, a220
	v_mov_b32_e32 v173, v172
	v_accvgpr_read_b32 v42, a70
	v_accvgpr_read_b32 v43, a70
	v_mov_b32_e32 v175, v174
	v_accvgpr_read_b32 v22, a236
	v_accvgpr_read_b32 v23, a236
	v_accvgpr_read_b32 v224, a146
	v_accvgpr_read_b32 v226, a148
	v_accvgpr_read_b32 v225, a146
	v_accvgpr_read_b32 v62, a16
	v_accvgpr_read_b32 v63, a16
	v_accvgpr_read_b32 v227, a148
	v_accvgpr_read_b32 v46, a222
	v_accvgpr_read_b32 v47, a222
	;; [unrolled: 14-line block ×3, first 2 shown]
	v_accvgpr_read_b32 v138, a138
	v_accvgpr_read_b32 v140, a140
	;; [unrolled: 1-line block ×33, first 2 shown]
	v_accvgpr_mov_b32 a51, a50
	v_accvgpr_read_b32 v223, a144
	v_accvgpr_read_b32 v248, a208
	;; [unrolled: 1-line block ×3, first 2 shown]
	v_mov_b32_e32 v157, v156
	v_accvgpr_mov_b32 a37, a47
	v_mov_b32_e32 v159, v158
	v_accvgpr_read_b32 v250, a210
	v_accvgpr_read_b32 v251, a210
	;; [unrolled: 1-line block ×5, first 2 shown]
	v_accvgpr_mov_b32 a13, a12
	v_accvgpr_read_b32 v243, a196
	v_accvgpr_read_b32 v246, a202
	;; [unrolled: 1-line block ×6, first 2 shown]
	v_accvgpr_mov_b32 a35, a41
	v_accvgpr_read_b32 v239, a192
	v_accvgpr_read_b32 v244, a198
	v_accvgpr_read_b32 v245, a198
	v_mov_b32_e32 v153, v152
	v_accvgpr_mov_b32 a33, a53
	v_mov_b32_e32 v155, v154
	v_accvgpr_read_b32 v252, a214
	v_accvgpr_read_b32 v253, a214
	v_mov_b32_e32 v161, v160
	v_accvgpr_mov_b32 a11, a10
	v_mov_b32_e32 v163, v162
	v_accvgpr_mov_b32 a125, a251
	;; [unrolled: 2-line block ×18, first 2 shown]
	v_pk_add_f32 v[0:1], v[20:21], v[0:1]
	ds_write_b64 v13, v[0:1] offset:560
	s_and_saveexec_b64 s[36:37], vcc
	s_cbranch_execz .LBB0_9
; %bb.8:
	v_accvgpr_write_b32 a38, v44
	v_accvgpr_write_b32 a57, v43
	;; [unrolled: 1-line block ×4, first 2 shown]
	v_accvgpr_read_b32 v42, a90
	v_accvgpr_read_b32 v43, a91
	;; [unrolled: 1-line block ×4, first 2 shown]
	v_accvgpr_write_b32 a91, v25
	v_accvgpr_write_b32 a16, v62
	;; [unrolled: 1-line block ×3, first 2 shown]
	v_accvgpr_read_b32 v24, a72
	v_accvgpr_write_b32 a17, v63
	v_accvgpr_read_b32 v62, a152
	v_accvgpr_read_b32 v25, a73
	;; [unrolled: 1-line block ×4, first 2 shown]
	v_accvgpr_write_b32 a46, v48
	v_accvgpr_write_b32 a73, v23
	v_accvgpr_read_b32 v63, a153
	v_accvgpr_read_b32 v2, a25
	v_accvgpr_write_b32 a24, v50
	v_accvgpr_write_b32 a30, v52
	v_mov_b64_e32 v[212:213], v[46:47]
	v_accvgpr_write_b32 a47, v49
	v_accvgpr_read_b32 v46, a94
	v_accvgpr_write_b32 a72, v22
	v_accvgpr_read_b32 v22, a19
	v_pk_mul_f32 v[0:1], v[44:45], v[62:63] op_sel:[0,1]
	v_accvgpr_write_b32 a25, v51
	v_accvgpr_write_b32 a31, v53
	v_accvgpr_read_b32 v50, a98
	v_accvgpr_read_b32 v47, a95
	v_accvgpr_write_b32 a49, v41
	v_accvgpr_write_b32 a53, v39
	v_mul_u32_u24_e32 v22, 0x4d, v22
	v_accvgpr_read_b32 v23, a55
	v_accvgpr_read_b32 v52, a100
	;; [unrolled: 1-line block ×3, first 2 shown]
	v_pk_mul_f32 v[6:7], v[26:27], v[46:47] op_sel_hi:[1,0]
	v_accvgpr_write_b32 a45, v33
	v_accvgpr_write_b32 a48, v40
	;; [unrolled: 1-line block ×3, first 2 shown]
	v_accvgpr_read_b32 v38, a84
	v_add_lshl_u32 v37, v22, v23, 3
	v_pk_fma_f32 v[22:23], v[44:45], v[62:63], v[0:1] op_sel:[0,0,1] op_sel_hi:[1,1,0]
	v_pk_fma_f32 v[0:1], v[44:45], v[62:63], v[0:1] op_sel:[0,0,1] op_sel_hi:[1,0,0] neg_lo:[1,0,0] neg_hi:[1,0,0]
	v_mov_b32_e32 v13, v209
	v_pk_mul_f32 v[4:5], v[42:43], v[52:53] op_sel:[0,1]
	v_accvgpr_read_b32 v48, a96
	v_accvgpr_read_b32 v49, a97
	v_mov_b64_e32 v[208:209], v[34:35]
	v_accvgpr_write_b32 a44, v32
	v_accvgpr_read_b32 v32, a80
	v_accvgpr_read_b32 v39, a85
	v_mov_b32_e32 v23, v1
	v_pk_fma_f32 v[0:1], v[26:27], v[46:47], v[6:7] op_sel:[1,1,0] op_sel_hi:[0,1,1]
	v_pk_fma_f32 v[6:7], v[26:27], v[46:47], v[6:7] op_sel:[1,1,0] op_sel_hi:[0,1,1] neg_lo:[0,0,1] neg_hi:[0,0,1]
	v_accvgpr_read_b32 v51, a99
	v_accvgpr_read_b32 v34, a82
	v_accvgpr_read_b32 v35, a83
	v_pk_mul_f32 v[10:11], v[38:39], v[48:49] op_sel:[0,1]
	v_accvgpr_read_b32 v54, a102
	v_mov_b32_e32 v1, v7
	v_pk_fma_f32 v[6:7], v[42:43], v[52:53], v[4:5] op_sel:[0,0,1] op_sel_hi:[1,1,0]
	v_pk_fma_f32 v[4:5], v[42:43], v[52:53], v[4:5] op_sel:[0,0,1] op_sel_hi:[1,0,0] neg_lo:[1,0,0] neg_hi:[1,0,0]
	v_pk_mul_f32 v[8:9], v[34:35], v[50:51] op_sel:[0,1]
	v_accvgpr_read_b32 v40, a86
	v_accvgpr_read_b32 v41, a87
	;; [unrolled: 1-line block ×4, first 2 shown]
	v_accvgpr_write_b32 a43, v31
	v_mov_b32_e32 v7, v5
	v_pk_fma_f32 v[4:5], v[38:39], v[48:49], v[10:11] op_sel:[0,0,1] op_sel_hi:[1,1,0]
	v_pk_fma_f32 v[10:11], v[38:39], v[48:49], v[10:11] op_sel:[0,0,1] op_sel_hi:[1,0,0] neg_lo:[1,0,0] neg_hi:[1,0,0]
	v_accvgpr_read_b32 v33, a81
	v_accvgpr_read_b32 v60, a108
	;; [unrolled: 1-line block ×3, first 2 shown]
	v_accvgpr_write_b32 a75, v15
	v_pk_mul_f32 v[16:17], v[40:41], v[54:55] op_sel:[0,1]
	v_accvgpr_write_b32 a42, v30
	v_accvgpr_read_b32 v28, a76
	v_mov_b32_e32 v5, v11
	v_pk_fma_f32 v[10:11], v[34:35], v[50:51], v[8:9] op_sel:[0,0,1] op_sel_hi:[1,1,0]
	v_pk_fma_f32 v[8:9], v[34:35], v[50:51], v[8:9] op_sel:[0,0,1] op_sel_hi:[1,0,0] neg_lo:[1,0,0] neg_hi:[1,0,0]
	v_accvgpr_write_b32 a74, v14
	v_pk_mul_f32 v[14:15], v[32:33], v[60:61] op_sel:[0,1]
	v_accvgpr_read_b32 v56, a104
	v_accvgpr_read_b32 v57, a105
	;; [unrolled: 1-line block ×3, first 2 shown]
	v_mov_b32_e32 v11, v9
	v_pk_fma_f32 v[8:9], v[40:41], v[54:55], v[16:17] op_sel:[0,0,1] op_sel_hi:[1,1,0]
	v_pk_fma_f32 v[16:17], v[40:41], v[54:55], v[16:17] op_sel:[0,0,1] op_sel_hi:[1,0,0] neg_lo:[1,0,0] neg_hi:[1,0,0]
	v_accvgpr_read_b32 v59, a107
	v_accvgpr_read_b32 v30, a78
	;; [unrolled: 1-line block ×3, first 2 shown]
	v_pk_mul_f32 v[20:21], v[28:29], v[56:57] op_sel:[0,1]
	v_mov_b32_e32 v9, v17
	v_pk_fma_f32 v[16:17], v[32:33], v[60:61], v[14:15] op_sel:[0,0,1] op_sel_hi:[1,1,0]
	v_pk_fma_f32 v[14:15], v[32:33], v[60:61], v[14:15] op_sel:[0,0,1] op_sel_hi:[1,0,0] neg_lo:[1,0,0] neg_hi:[1,0,0]
	v_pk_mul_f32 v[18:19], v[30:31], v[58:59] op_sel:[0,1]
	v_mov_b32_e32 v17, v15
	v_pk_fma_f32 v[14:15], v[28:29], v[56:57], v[20:21] op_sel:[0,0,1] op_sel_hi:[1,1,0]
	v_pk_fma_f32 v[20:21], v[28:29], v[56:57], v[20:21] op_sel:[0,0,1] op_sel_hi:[1,0,0] neg_lo:[1,0,0] neg_hi:[1,0,0]
	v_pk_mul_f32 v[2:3], v[24:25], v[2:3] op_sel_hi:[1,0]
	v_mov_b32_e32 v15, v21
	v_pk_fma_f32 v[20:21], v[30:31], v[58:59], v[18:19] op_sel:[0,0,1] op_sel_hi:[1,1,0]
	v_pk_fma_f32 v[18:19], v[30:31], v[58:59], v[18:19] op_sel:[0,0,1] op_sel_hi:[1,0,0] neg_lo:[1,0,0] neg_hi:[1,0,0]
	v_pk_add_f32 v[28:29], v[0:1], v[6:7] neg_lo:[0,1] neg_hi:[0,1]
	v_mov_b32_e32 v21, v19
	v_pk_fma_f32 v[18:19], v[24:25], v[210:211], v[2:3] op_sel:[0,0,1] op_sel_hi:[1,1,0]
	v_pk_fma_f32 v[2:3], v[24:25], v[210:211], v[2:3] op_sel:[0,0,1] op_sel_hi:[1,0,0] neg_lo:[1,0,0] neg_hi:[1,0,0]
	v_pk_add_f32 v[26:27], v[6:7], v[0:1]
	v_mov_b32_e32 v19, v3
	v_pk_add_f32 v[24:25], v[18:19], v[22:23] neg_lo:[0,1] neg_hi:[0,1]
	v_pk_add_f32 v[2:3], v[22:23], v[18:19]
	v_pk_mul_f32 v[44:45], v[24:25], s[18:19] op_sel_hi:[1,0]
	v_pk_mul_f32 v[50:51], v[28:29], s[30:31] op_sel_hi:[1,0]
	v_pk_fma_f32 v[46:47], v[2:3], s[8:9], v[44:45] op_sel:[0,0,1] op_sel_hi:[1,0,0]
	v_pk_fma_f32 v[44:45], v[2:3], s[8:9], v[44:45] op_sel:[0,0,1] op_sel_hi:[1,0,0] neg_lo:[0,0,1] neg_hi:[0,0,1]
	v_mov_b32_e32 v48, v46
	v_mov_b32_e32 v49, v45
	v_pk_fma_f32 v[52:53], v[26:27], s[0:1], v[50:51] op_sel:[0,0,1] op_sel_hi:[1,0,0]
	v_pk_fma_f32 v[50:51], v[26:27], s[0:1], v[50:51] op_sel:[0,0,1] op_sel_hi:[1,0,0] neg_lo:[0,0,1] neg_hi:[0,0,1]
	v_pk_add_f32 v[32:33], v[4:5], v[10:11] neg_lo:[0,1] neg_hi:[0,1]
	v_pk_add_f32 v[48:49], v[12:13], v[48:49]
	v_mov_b32_e32 v54, v52
	v_mov_b32_e32 v55, v51
	v_pk_add_f32 v[30:31], v[10:11], v[4:5]
	v_pk_add_f32 v[48:49], v[54:55], v[48:49]
	v_pk_mul_f32 v[54:55], v[32:33], s[12:13] op_sel_hi:[1,0]
	v_pk_add_f32 v[18:19], v[12:13], v[18:19]
	v_pk_fma_f32 v[56:57], v[30:31], s[10:11], v[54:55] op_sel:[0,0,1] op_sel_hi:[1,0,0]
	v_pk_fma_f32 v[54:55], v[30:31], s[10:11], v[54:55] op_sel:[0,0,1] op_sel_hi:[1,0,0] neg_lo:[0,0,1] neg_hi:[0,0,1]
	v_pk_add_f32 v[0:1], v[0:1], v[18:19]
	v_pk_add_f32 v[38:39], v[8:9], v[16:17] neg_lo:[0,1] neg_hi:[0,1]
	v_mov_b32_e32 v58, v56
	v_mov_b32_e32 v59, v55
	v_pk_add_f32 v[0:1], v[4:5], v[0:1]
	v_pk_add_f32 v[34:35], v[16:17], v[8:9]
	;; [unrolled: 1-line block ×3, first 2 shown]
	v_pk_mul_f32 v[58:59], v[38:39], s[16:17] op_sel_hi:[1,0]
	v_pk_add_f32 v[0:1], v[8:9], v[0:1]
	v_pk_fma_f32 v[60:61], v[34:35], s[14:15], v[58:59] op_sel:[0,0,1] op_sel_hi:[1,0,0]
	v_pk_fma_f32 v[58:59], v[34:35], s[14:15], v[58:59] op_sel:[0,0,1] op_sel_hi:[1,0,0] neg_lo:[0,0,1] neg_hi:[0,0,1]
	v_pk_add_f32 v[0:1], v[14:15], v[0:1]
	v_pk_add_f32 v[42:43], v[14:15], v[20:21] neg_lo:[0,1] neg_hi:[0,1]
	v_mov_b32_e32 v62, v60
	v_mov_b32_e32 v63, v59
	v_pk_add_f32 v[0:1], v[20:21], v[0:1]
	v_pk_add_f32 v[40:41], v[20:21], v[14:15]
	;; [unrolled: 1-line block ×3, first 2 shown]
	v_pk_mul_f32 v[62:63], v[42:43], s[22:23] op_sel_hi:[1,0]
	v_pk_add_f32 v[0:1], v[16:17], v[0:1]
	v_pk_fma_f32 v[64:65], v[40:41], s[20:21], v[62:63] op_sel:[0,0,1] op_sel_hi:[1,0,0]
	v_pk_fma_f32 v[62:63], v[40:41], s[20:21], v[62:63] op_sel:[0,0,1] op_sel_hi:[1,0,0] neg_lo:[0,0,1] neg_hi:[0,0,1]
	v_accvgpr_write_b32 a40, v66
	v_pk_add_f32 v[0:1], v[10:11], v[0:1]
	v_accvgpr_write_b32 a41, v67
	v_mov_b32_e32 v66, v64
	v_mov_b32_e32 v67, v63
	v_pk_add_f32 v[0:1], v[6:7], v[0:1]
	v_pk_add_f32 v[48:49], v[66:67], v[48:49]
	;; [unrolled: 1-line block ×3, first 2 shown]
	ds_write2_b64 v37, v[0:1], v[48:49] offset1:7
	v_pk_mul_f32 v[0:1], v[24:25], s[30:31] op_sel_hi:[1,0]
	v_pk_mul_f32 v[8:9], v[28:29], s[16:17] op_sel_hi:[1,0]
	v_pk_fma_f32 v[4:5], v[2:3], s[0:1], v[0:1] op_sel:[0,0,1] op_sel_hi:[1,0,0]
	v_pk_fma_f32 v[0:1], v[2:3], s[0:1], v[0:1] op_sel:[0,0,1] op_sel_hi:[1,0,0] neg_lo:[0,0,1] neg_hi:[0,0,1]
	v_mov_b32_e32 v6, v4
	v_mov_b32_e32 v7, v1
	v_pk_fma_f32 v[10:11], v[26:27], s[14:15], v[8:9] op_sel:[0,0,1] op_sel_hi:[1,0,0]
	v_pk_fma_f32 v[8:9], v[26:27], s[14:15], v[8:9] op_sel:[0,0,1] op_sel_hi:[1,0,0] neg_lo:[0,0,1] neg_hi:[0,0,1]
	v_pk_add_f32 v[6:7], v[12:13], v[6:7]
	v_mov_b32_e32 v14, v10
	v_mov_b32_e32 v15, v9
	v_pk_add_f32 v[6:7], v[14:15], v[6:7]
	v_pk_mul_f32 v[14:15], v[32:33], s[34:35] op_sel_hi:[1,0]
	v_mov_b64_e32 v[210:211], v[68:69]
	v_pk_fma_f32 v[16:17], v[30:31], s[20:21], v[14:15] op_sel:[0,0,1] op_sel_hi:[1,0,0]
	v_pk_fma_f32 v[14:15], v[30:31], s[20:21], v[14:15] op_sel:[0,0,1] op_sel_hi:[1,0,0] neg_lo:[0,0,1] neg_hi:[0,0,1]
	v_mov_b32_e32 v18, v16
	v_mov_b32_e32 v19, v15
	v_pk_add_f32 v[6:7], v[18:19], v[6:7]
	v_pk_mul_f32 v[18:19], v[38:39], s[28:29] op_sel_hi:[1,0]
	v_accvgpr_write_b32 a20, v70
	v_pk_fma_f32 v[20:21], v[34:35], s[10:11], v[18:19] op_sel:[0,0,1] op_sel_hi:[1,0,0]
	v_pk_fma_f32 v[18:19], v[34:35], s[10:11], v[18:19] op_sel:[0,0,1] op_sel_hi:[1,0,0] neg_lo:[0,0,1] neg_hi:[0,0,1]
	v_mov_b32_e32 v22, v20
	v_mov_b32_e32 v23, v19
	v_pk_add_f32 v[6:7], v[22:23], v[6:7]
	v_pk_mul_f32 v[22:23], v[42:43], s[24:25] op_sel_hi:[1,0]
	v_pk_mul_f32 v[72:73], v[28:29], s[34:35] op_sel_hi:[1,0]
	v_pk_fma_f32 v[48:49], v[40:41], s[8:9], v[22:23] op_sel:[0,0,1] op_sel_hi:[1,0,0]
	v_pk_fma_f32 v[22:23], v[40:41], s[8:9], v[22:23] op_sel:[0,0,1] op_sel_hi:[1,0,0] neg_lo:[0,0,1] neg_hi:[0,0,1]
	v_mov_b32_e32 v66, v48
	v_mov_b32_e32 v67, v23
	v_pk_add_f32 v[6:7], v[66:67], v[6:7]
	v_pk_mul_f32 v[66:67], v[24:25], s[12:13] op_sel_hi:[1,0]
	v_accvgpr_write_b32 a21, v71
	v_pk_fma_f32 v[68:69], v[2:3], s[10:11], v[66:67] op_sel:[0,0,1] op_sel_hi:[1,0,0]
	v_pk_fma_f32 v[66:67], v[2:3], s[10:11], v[66:67] op_sel:[0,0,1] op_sel_hi:[1,0,0] neg_lo:[0,0,1] neg_hi:[0,0,1]
	v_mov_b32_e32 v70, v68
	v_mov_b32_e32 v71, v67
	v_pk_fma_f32 v[74:75], v[26:27], s[20:21], v[72:73] op_sel:[0,0,1] op_sel_hi:[1,0,0]
	v_pk_fma_f32 v[72:73], v[26:27], s[20:21], v[72:73] op_sel:[0,0,1] op_sel_hi:[1,0,0] neg_lo:[0,0,1] neg_hi:[0,0,1]
	v_pk_add_f32 v[70:71], v[12:13], v[70:71]
	v_mov_b32_e32 v76, v74
	v_mov_b32_e32 v77, v73
	v_pk_add_f32 v[70:71], v[76:77], v[70:71]
	v_pk_mul_f32 v[76:77], v[32:33], s[26:27] op_sel_hi:[1,0]
	v_pk_mul_f32 v[90:91], v[28:29], s[28:29] op_sel_hi:[1,0]
	v_pk_fma_f32 v[78:79], v[30:31], s[0:1], v[76:77] op_sel:[0,0,1] op_sel_hi:[1,0,0]
	v_pk_fma_f32 v[76:77], v[30:31], s[0:1], v[76:77] op_sel:[0,0,1] op_sel_hi:[1,0,0] neg_lo:[0,0,1] neg_hi:[0,0,1]
	v_mov_b32_e32 v80, v78
	v_mov_b32_e32 v81, v77
	v_pk_add_f32 v[70:71], v[80:81], v[70:71]
	v_pk_mul_f32 v[80:81], v[38:39], s[18:19] op_sel_hi:[1,0]
	v_pk_fma_f32 v[92:93], v[26:27], s[10:11], v[90:91] op_sel:[0,0,1] op_sel_hi:[1,0,0]
	v_pk_fma_f32 v[82:83], v[34:35], s[8:9], v[80:81] op_sel:[0,0,1] op_sel_hi:[1,0,0]
	v_pk_fma_f32 v[80:81], v[34:35], s[8:9], v[80:81] op_sel:[0,0,1] op_sel_hi:[1,0,0] neg_lo:[0,0,1] neg_hi:[0,0,1]
	v_mov_b32_e32 v84, v82
	v_mov_b32_e32 v85, v81
	v_pk_add_f32 v[70:71], v[84:85], v[70:71]
	v_pk_mul_f32 v[84:85], v[42:43], s[16:17] op_sel_hi:[1,0]
	v_pk_fma_f32 v[90:91], v[26:27], s[10:11], v[90:91] op_sel:[0,0,1] op_sel_hi:[1,0,0] neg_lo:[0,0,1] neg_hi:[0,0,1]
	v_pk_fma_f32 v[86:87], v[40:41], s[14:15], v[84:85] op_sel:[0,0,1] op_sel_hi:[1,0,0]
	v_pk_fma_f32 v[84:85], v[40:41], s[14:15], v[84:85] op_sel:[0,0,1] op_sel_hi:[1,0,0] neg_lo:[0,0,1] neg_hi:[0,0,1]
	v_mov_b32_e32 v88, v86
	v_mov_b32_e32 v89, v85
	v_pk_add_f32 v[70:71], v[88:89], v[70:71]
	ds_write2_b64 v37, v[6:7], v[70:71] offset0:14 offset1:21
	v_pk_mul_f32 v[6:7], v[24:25], s[16:17] op_sel_hi:[1,0]
	v_mov_b32_e32 v94, v92
	v_pk_fma_f32 v[70:71], v[2:3], s[14:15], v[6:7] op_sel:[0,0,1] op_sel_hi:[1,0,0]
	v_pk_fma_f32 v[6:7], v[2:3], s[14:15], v[6:7] op_sel:[0,0,1] op_sel_hi:[1,0,0] neg_lo:[0,0,1] neg_hi:[0,0,1]
	v_mov_b32_e32 v88, v70
	v_mov_b32_e32 v89, v7
	v_pk_add_f32 v[88:89], v[12:13], v[88:89]
	v_mov_b32_e32 v95, v91
	v_pk_add_f32 v[88:89], v[94:95], v[88:89]
	v_pk_mul_f32 v[94:95], v[32:33], s[18:19] op_sel_hi:[1,0]
	v_accvgpr_write_b32 a28, v106
	v_pk_fma_f32 v[96:97], v[30:31], s[8:9], v[94:95] op_sel:[0,0,1] op_sel_hi:[1,0,0]
	v_pk_fma_f32 v[94:95], v[30:31], s[8:9], v[94:95] op_sel:[0,0,1] op_sel_hi:[1,0,0] neg_lo:[0,0,1] neg_hi:[0,0,1]
	v_mov_b32_e32 v98, v96
	v_mov_b32_e32 v99, v95
	v_pk_add_f32 v[88:89], v[98:99], v[88:89]
	v_pk_mul_f32 v[98:99], v[38:39], s[22:23] op_sel_hi:[1,0]
	v_accvgpr_write_b32 a29, v107
	v_pk_fma_f32 v[100:101], v[34:35], s[20:21], v[98:99] op_sel:[0,0,1] op_sel_hi:[1,0,0]
	v_pk_fma_f32 v[98:99], v[34:35], s[20:21], v[98:99] op_sel:[0,0,1] op_sel_hi:[1,0,0] neg_lo:[0,0,1] neg_hi:[0,0,1]
	v_mov_b32_e32 v102, v100
	v_mov_b32_e32 v103, v99
	v_pk_add_f32 v[88:89], v[102:103], v[88:89]
	v_pk_mul_f32 v[102:103], v[42:43], s[26:27] op_sel_hi:[1,0]
	v_pk_mul_f32 v[24:25], v[24:25], s[22:23] op_sel_hi:[1,0]
	v_pk_fma_f32 v[104:105], v[40:41], s[0:1], v[102:103] op_sel:[0,0,1] op_sel_hi:[1,0,0]
	v_pk_fma_f32 v[102:103], v[40:41], s[0:1], v[102:103] op_sel:[0,0,1] op_sel_hi:[1,0,0] neg_lo:[0,0,1] neg_hi:[0,0,1]
	v_mov_b32_e32 v106, v104
	v_mov_b32_e32 v107, v103
	v_pk_add_f32 v[88:89], v[106:107], v[88:89]
	v_pk_fma_f32 v[106:107], v[2:3], s[20:21], v[24:25] op_sel:[0,0,1] op_sel_hi:[1,0,0]
	v_pk_fma_f32 v[2:3], v[2:3], s[20:21], v[24:25] op_sel:[0,0,1] op_sel_hi:[1,0,0] neg_lo:[0,0,1] neg_hi:[0,0,1]
	v_pk_mul_f32 v[28:29], v[28:29], s[24:25] op_sel_hi:[1,0]
	v_mov_b32_e32 v24, v106
	v_mov_b32_e32 v25, v3
	v_pk_fma_f32 v[108:109], v[26:27], s[8:9], v[28:29] op_sel:[0,0,1] op_sel_hi:[1,0,0]
	v_pk_fma_f32 v[26:27], v[26:27], s[8:9], v[28:29] op_sel:[0,0,1] op_sel_hi:[1,0,0] neg_lo:[0,0,1] neg_hi:[0,0,1]
	v_pk_add_f32 v[24:25], v[12:13], v[24:25]
	v_mov_b32_e32 v28, v108
	v_mov_b32_e32 v29, v27
	v_pk_add_f32 v[24:25], v[28:29], v[24:25]
	v_pk_mul_f32 v[28:29], v[32:33], s[16:17] op_sel_hi:[1,0]
	v_mov_b32_e32 v3, v107
	v_pk_fma_f32 v[32:33], v[30:31], s[14:15], v[28:29] op_sel:[0,0,1] op_sel_hi:[1,0,0]
	v_pk_fma_f32 v[28:29], v[30:31], s[14:15], v[28:29] op_sel:[0,0,1] op_sel_hi:[1,0,0] neg_lo:[0,0,1] neg_hi:[0,0,1]
	v_mov_b32_e32 v30, v32
	v_mov_b32_e32 v31, v29
	v_pk_add_f32 v[24:25], v[30:31], v[24:25]
	v_pk_mul_f32 v[30:31], v[38:39], s[26:27] op_sel_hi:[1,0]
	v_mov_b32_e32 v7, v71
	v_pk_fma_f32 v[38:39], v[34:35], s[0:1], v[30:31] op_sel:[0,0,1] op_sel_hi:[1,0,0]
	v_pk_fma_f32 v[30:31], v[34:35], s[0:1], v[30:31] op_sel:[0,0,1] op_sel_hi:[1,0,0] neg_lo:[0,0,1] neg_hi:[0,0,1]
	v_mov_b32_e32 v34, v38
	v_mov_b32_e32 v35, v31
	v_pk_add_f32 v[2:3], v[12:13], v[2:3]
	v_mov_b32_e32 v27, v109
	v_pk_add_f32 v[6:7], v[12:13], v[6:7]
	;; [unrolled: 2-line block ×3, first 2 shown]
	v_pk_mul_f32 v[34:35], v[42:43], s[12:13] op_sel_hi:[1,0]
	v_pk_add_f32 v[2:3], v[26:27], v[2:3]
	v_mov_b32_e32 v29, v33
	v_pk_add_f32 v[6:7], v[90:91], v[6:7]
	v_mov_b32_e32 v95, v97
	v_pk_fma_f32 v[42:43], v[40:41], s[10:11], v[34:35] op_sel:[0,0,1] op_sel_hi:[1,0,0]
	v_pk_fma_f32 v[34:35], v[40:41], s[10:11], v[34:35] op_sel:[0,0,1] op_sel_hi:[1,0,0] neg_lo:[0,0,1] neg_hi:[0,0,1]
	v_pk_add_f32 v[2:3], v[28:29], v[2:3]
	v_mov_b32_e32 v31, v39
	v_pk_add_f32 v[6:7], v[94:95], v[6:7]
	v_mov_b32_e32 v99, v101
	v_mov_b32_e32 v41, v35
	v_pk_add_f32 v[2:3], v[30:31], v[2:3]
	v_mov_b32_e32 v35, v43
	v_pk_add_f32 v[6:7], v[98:99], v[6:7]
	;; [unrolled: 2-line block ×3, first 2 shown]
	v_pk_add_f32 v[6:7], v[102:103], v[6:7]
	v_mov_b32_e32 v67, v69
	v_mov_b32_e32 v1, v5
	ds_write2_b64 v37, v[2:3], v[6:7] offset0:42 offset1:49
	v_pk_add_f32 v[2:3], v[12:13], v[66:67]
	v_mov_b32_e32 v73, v75
	v_pk_add_f32 v[0:1], v[12:13], v[0:1]
	v_mov_b32_e32 v9, v11
	;; [unrolled: 2-line block ×8, first 2 shown]
	v_pk_add_f32 v[2:3], v[84:85], v[2:3]
	v_pk_add_f32 v[0:1], v[22:23], v[0:1]
	v_mov_b32_e32 v45, v47
	ds_write2_b64 v37, v[2:3], v[0:1] offset0:56 offset1:63
	v_pk_add_f32 v[0:1], v[12:13], v[44:45]
	v_mov_b32_e32 v51, v53
	v_pk_add_f32 v[0:1], v[50:51], v[0:1]
	v_mov_b32_e32 v55, v57
	v_mov_b32_e32 v40, v42
	v_pk_add_f32 v[0:1], v[54:55], v[0:1]
	v_mov_b32_e32 v59, v61
	v_pk_add_f32 v[24:25], v[40:41], v[24:25]
	v_pk_add_f32 v[0:1], v[58:59], v[0:1]
	v_mov_b32_e32 v63, v65
	v_accvgpr_read_b32 v40, a48
	ds_write2_b64 v37, v[88:89], v[24:25] offset0:28 offset1:35
	v_accvgpr_read_b32 v24, a90
	v_accvgpr_read_b32 v107, a29
	;; [unrolled: 1-line block ×14, first 2 shown]
	v_pk_add_f32 v[0:1], v[62:63], v[0:1]
	v_accvgpr_read_b32 v63, a17
	v_accvgpr_read_b32 v41, a49
	;; [unrolled: 1-line block ×8, first 2 shown]
	v_mov_b64_e32 v[34:35], v[208:209]
	v_accvgpr_read_b32 v70, a20
	v_mov_b64_e32 v[68:69], v[210:211]
	v_accvgpr_read_b32 v66, a40
	v_accvgpr_read_b32 v15, a75
	;; [unrolled: 1-line block ×4, first 2 shown]
	v_mov_b64_e32 v[46:47], v[212:213]
	v_accvgpr_read_b32 v44, a38
	v_accvgpr_read_b32 v52, a30
	;; [unrolled: 1-line block ×4, first 2 shown]
	ds_write_b64 v37, v[0:1] offset:560
.LBB0_9:
	s_or_b64 exec, exec, s[36:37]
	s_waitcnt lgkmcnt(0)
	; wave barrier
	s_waitcnt lgkmcnt(0)
	ds_read_b64 v[0:1], v36 offset:14960
	v_add_u32_e32 v91, 0x2800, v36
	v_add_u32_e32 v90, 0x3400, v36
	;; [unrolled: 1-line block ×3, first 2 shown]
	s_mov_b32 s0, 0x3f737871
	s_waitcnt lgkmcnt(0)
	v_pk_mul_f32 v[2:3], v[14:15], v[0:1]
	s_mov_b32 s10, 0x3f167918
	v_pk_fma_f32 v[6:7], v[178:179], v[0:1], v[2:3] op_sel:[0,0,1] op_sel_hi:[1,1,0]
	v_pk_fma_f32 v[12:13], v[178:179], v[0:1], v[2:3] op_sel:[0,0,1] op_sel_hi:[1,1,0] neg_lo:[0,0,1] neg_hi:[0,0,1]
	ds_read2_b64 v[0:3], v91 offset0:150 offset1:205
	s_mov_b32 s8, 0x3e9e377a
	v_accvgpr_read_b32 v7, a131
	s_waitcnt lgkmcnt(0)
	v_pk_mul_f32 v[4:5], v[52:53], v[2:3]
	s_nop 0
	v_pk_fma_f32 v[8:9], v[176:177], v[2:3], v[4:5] op_sel:[0,0,1] op_sel_hi:[1,1,0]
	v_pk_fma_f32 v[18:19], v[176:177], v[2:3], v[4:5] op_sel:[0,0,1] op_sel_hi:[1,1,0] neg_lo:[0,0,1] neg_hi:[0,0,1]
	v_pk_mul_f32 v[2:3], v[42:43], v[0:1]
	v_accvgpr_read_b32 v9, a139
	v_pk_fma_f32 v[14:15], v[172:173], v[0:1], v[2:3] op_sel:[0,0,1] op_sel_hi:[1,1,0]
	v_pk_fma_f32 v[20:21], v[172:173], v[0:1], v[2:3] op_sel:[0,0,1] op_sel_hi:[1,1,0] neg_lo:[0,0,1] neg_hi:[0,0,1]
	ds_read2_b64 v[0:3], v90 offset0:96 offset1:151
	v_mov_b32_e32 v15, v21
	s_waitcnt lgkmcnt(0)
	v_pk_mul_f32 v[4:5], v[22:23], v[2:3]
	s_nop 0
	v_pk_fma_f32 v[16:17], v[174:175], v[2:3], v[4:5] op_sel:[0,0,1] op_sel_hi:[1,1,0]
	v_pk_fma_f32 v[22:23], v[174:175], v[2:3], v[4:5] op_sel:[0,0,1] op_sel_hi:[1,1,0] neg_lo:[0,0,1] neg_hi:[0,0,1]
	v_pk_mul_f32 v[2:3], v[24:25], v[0:1]
	v_mov_b32_e32 v17, v23
	v_pk_fma_f32 v[24:25], v[170:171], v[0:1], v[2:3] op_sel:[0,0,1] op_sel_hi:[1,1,0]
	v_pk_fma_f32 v[10:11], v[170:171], v[0:1], v[2:3] op_sel:[0,0,1] op_sel_hi:[1,1,0] neg_lo:[0,0,1] neg_hi:[0,0,1]
	ds_read2_b64 v[0:3], v91 offset0:40 offset1:95
	v_mov_b32_e32 v25, v11
	s_waitcnt lgkmcnt(0)
	v_pk_mul_f32 v[4:5], v[38:39], v[2:3]
	s_nop 0
	v_pk_fma_f32 v[28:29], v[168:169], v[2:3], v[4:5] op_sel:[0,0,1] op_sel_hi:[1,1,0]
	v_pk_fma_f32 v[38:39], v[168:169], v[2:3], v[4:5] op_sel:[0,0,1] op_sel_hi:[1,1,0] neg_lo:[0,0,1] neg_hi:[0,0,1]
	v_pk_mul_f32 v[2:3], v[40:41], v[0:1]
	v_add_u32_e32 v38, 0x1c00, v36
	v_pk_fma_f32 v[40:41], v[138:139], v[0:1], v[2:3] op_sel:[0,0,1] op_sel_hi:[1,1,0]
	v_pk_fma_f32 v[56:57], v[138:139], v[0:1], v[2:3] op_sel:[0,0,1] op_sel_hi:[1,1,0] neg_lo:[0,0,1] neg_hi:[0,0,1]
	ds_read2_b64 v[0:3], v37 offset0:114 offset1:169
	v_add_u32_e32 v56, 0x2000, v36
	v_mov_b32_e32 v41, v57
	v_mov_b32_e32 v29, v39
	v_accvgpr_read_b32 v39, a133
	s_waitcnt lgkmcnt(0)
	v_pk_mul_f32 v[4:5], v[218:219], v[2:3]
	s_nop 0
	v_pk_fma_f32 v[42:43], v[140:141], v[2:3], v[4:5] op_sel:[0,0,1] op_sel_hi:[1,1,0]
	v_pk_fma_f32 v[58:59], v[140:141], v[2:3], v[4:5] op_sel:[0,0,1] op_sel_hi:[1,1,0] neg_lo:[0,0,1] neg_hi:[0,0,1]
	v_pk_mul_f32 v[2:3], v[216:217], v[0:1]
	v_add_u32_e32 v58, 0x1000, v36
	v_pk_fma_f32 v[88:89], v[136:137], v[0:1], v[2:3] op_sel:[0,0,1] op_sel_hi:[1,1,0]
	v_pk_fma_f32 v[72:73], v[136:137], v[0:1], v[2:3] op_sel:[0,0,1] op_sel_hi:[1,1,0] neg_lo:[0,0,1] neg_hi:[0,0,1]
	ds_read2_b64 v[0:3], v56 offset0:186 offset1:241
	v_mov_b32_e32 v89, v73
	v_mov_b32_e32 v43, v59
	s_waitcnt lgkmcnt(0)
	v_pk_mul_f32 v[4:5], v[50:51], v[2:3]
	s_nop 0
	v_pk_fma_f32 v[74:75], v[134:135], v[2:3], v[4:5] op_sel:[0,0,1] op_sel_hi:[1,1,0]
	v_pk_fma_f32 v[76:77], v[134:135], v[2:3], v[4:5] op_sel:[0,0,1] op_sel_hi:[1,1,0] neg_lo:[0,0,1] neg_hi:[0,0,1]
	v_pk_mul_f32 v[2:3], v[48:49], v[0:1]
	v_mov_b32_e32 v75, v77
	v_pk_fma_f32 v[78:79], v[118:119], v[0:1], v[2:3] op_sel:[0,0,1] op_sel_hi:[1,1,0]
	v_pk_fma_f32 v[80:81], v[118:119], v[0:1], v[2:3] op_sel:[0,0,1] op_sel_hi:[1,1,0] neg_lo:[0,0,1] neg_hi:[0,0,1]
	ds_read2_b64 v[0:3], v37 offset0:4 offset1:59
	v_mov_b32_e32 v79, v81
	s_waitcnt lgkmcnt(0)
	v_pk_mul_f32 v[4:5], v[214:215], v[2:3]
	s_nop 0
	v_pk_fma_f32 v[82:83], v[120:121], v[2:3], v[4:5] op_sel:[0,0,1] op_sel_hi:[1,1,0]
	v_pk_fma_f32 v[84:85], v[120:121], v[2:3], v[4:5] op_sel:[0,0,1] op_sel_hi:[1,1,0] neg_lo:[0,0,1] neg_hi:[0,0,1]
	v_pk_mul_f32 v[2:3], v[146:147], v[0:1]
	v_mov_b32_e32 v83, v85
	v_pk_fma_f32 v[86:87], v[112:113], v[0:1], v[2:3] op_sel:[0,0,1] op_sel_hi:[1,1,0]
	v_pk_fma_f32 v[4:5], v[112:113], v[0:1], v[2:3] op_sel:[0,0,1] op_sel_hi:[1,1,0] neg_lo:[0,0,1] neg_hi:[0,0,1]
	ds_read2_b64 v[0:3], v56 offset0:76 offset1:131
	v_mov_b32_e32 v87, v5
	v_pk_add_f32 v[80:81], v[82:83], v[78:79] neg_lo:[0,1] neg_hi:[0,1]
	s_waitcnt lgkmcnt(0)
	v_pk_mul_f32 v[26:27], v[30:31], v[2:3]
	s_nop 0
	v_pk_fma_f32 v[92:93], v[110:111], v[2:3], v[26:27] op_sel:[0,0,1] op_sel_hi:[1,1,0]
	v_pk_fma_f32 v[64:65], v[110:111], v[2:3], v[26:27] op_sel:[0,0,1] op_sel_hi:[1,1,0] neg_lo:[0,0,1] neg_hi:[0,0,1]
	v_pk_mul_f32 v[2:3], v[254:255], v[0:1]
	v_mov_b32_e32 v93, v65
	v_pk_fma_f32 v[26:27], v[234:235], v[0:1], v[2:3] op_sel:[0,0,1] op_sel_hi:[1,1,0]
	v_pk_fma_f32 v[48:49], v[234:235], v[0:1], v[2:3] op_sel:[0,0,1] op_sel_hi:[1,1,0] neg_lo:[0,0,1] neg_hi:[0,0,1]
	ds_read2_b64 v[0:3], v58 offset0:148 offset1:203
	v_add_u32_e32 v48, 0x800, v36
	v_pk_add_f32 v[4:5], v[86:87], v[92:93] neg_lo:[0,1] neg_hi:[0,1]
	v_mov_b32_e32 v27, v49
	s_waitcnt lgkmcnt(0)
	v_pk_mul_f32 v[32:33], v[32:33], v[2:3]
	s_nop 0
	v_pk_fma_f32 v[30:31], v[232:233], v[2:3], v[32:33] op_sel:[0,0,1] op_sel_hi:[1,1,0]
	v_pk_fma_f32 v[54:55], v[232:233], v[2:3], v[32:33] op_sel:[0,0,1] op_sel_hi:[1,1,0] neg_lo:[0,0,1] neg_hi:[0,0,1]
	v_pk_mul_f32 v[2:3], v[44:45], v[0:1]
	v_mov_b32_e32 v31, v55
	v_pk_fma_f32 v[32:33], v[228:229], v[0:1], v[2:3] op_sel:[0,0,1] op_sel_hi:[1,1,0]
	v_pk_fma_f32 v[50:51], v[228:229], v[0:1], v[2:3] op_sel:[0,0,1] op_sel_hi:[1,1,0] neg_lo:[0,0,1] neg_hi:[0,0,1]
	ds_read2_b64 v[0:3], v38 offset0:94 offset1:149
	v_add_u32_e32 v50, 0x1800, v36
	v_mov_b32_e32 v33, v51
	s_waitcnt lgkmcnt(0)
	v_pk_mul_f32 v[44:45], v[34:35], v[2:3]
	s_nop 0
	v_pk_fma_f32 v[34:35], v[230:231], v[2:3], v[44:45] op_sel:[0,0,1] op_sel_hi:[1,1,0]
	v_pk_fma_f32 v[52:53], v[230:231], v[2:3], v[44:45] op_sel:[0,0,1] op_sel_hi:[1,1,0] neg_lo:[0,0,1] neg_hi:[0,0,1]
	v_pk_mul_f32 v[2:3], v[46:47], v[0:1]
	v_add_u32_e32 v52, 0x400, v36
	v_pk_fma_f32 v[44:45], v[226:227], v[0:1], v[2:3] op_sel:[0,0,1] op_sel_hi:[1,1,0]
	v_pk_fma_f32 v[60:61], v[226:227], v[0:1], v[2:3] op_sel:[0,0,1] op_sel_hi:[1,1,0] neg_lo:[0,0,1] neg_hi:[0,0,1]
	ds_read2_b64 v[0:3], v58 offset0:38 offset1:93
	v_mov_b32_e32 v45, v61
	v_mov_b32_e32 v35, v53
	v_pk_add_f32 v[54:55], v[34:35], v[14:15] neg_lo:[0,1] neg_hi:[0,1]
	s_waitcnt lgkmcnt(0)
	v_pk_mul_f32 v[62:63], v[62:63], v[2:3]
	s_nop 0
	v_pk_fma_f32 v[46:47], v[224:225], v[2:3], v[62:63] op_sel:[0,0,1] op_sel_hi:[1,1,0]
	v_pk_fma_f32 v[62:63], v[224:225], v[2:3], v[62:63] op_sel:[0,0,1] op_sel_hi:[1,1,0] neg_lo:[0,0,1] neg_hi:[0,0,1]
	v_pk_mul_f32 v[2:3], v[66:67], v[0:1]
	v_mov_b32_e32 v47, v63
	v_pk_fma_f32 v[94:95], v[130:131], v[0:1], v[2:3] op_sel:[0,0,1] op_sel_hi:[1,1,0]
	v_pk_fma_f32 v[96:97], v[130:131], v[0:1], v[2:3] op_sel:[0,0,1] op_sel_hi:[1,1,0] neg_lo:[0,0,1] neg_hi:[0,0,1]
	ds_read2_b64 v[0:3], v50 offset0:112 offset1:167
	v_mov_b32_e32 v95, v97
	v_pk_add_f32 v[62:63], v[44:45], v[28:29] neg_lo:[0,1] neg_hi:[0,1]
	s_waitcnt lgkmcnt(0)
	v_pk_mul_f32 v[66:67], v[148:149], v[2:3]
	s_nop 0
	v_pk_fma_f32 v[98:99], v[132:133], v[2:3], v[66:67] op_sel:[0,0,1] op_sel_hi:[1,1,0]
	v_pk_fma_f32 v[100:101], v[132:133], v[2:3], v[66:67] op_sel:[0,0,1] op_sel_hi:[1,1,0] neg_lo:[0,0,1] neg_hi:[0,0,1]
	v_pk_mul_f32 v[2:3], v[150:151], v[0:1]
	v_mov_b32_e32 v99, v101
	v_pk_fma_f32 v[102:103], v[128:129], v[0:1], v[2:3] op_sel:[0,0,1] op_sel_hi:[1,1,0]
	v_pk_fma_f32 v[104:105], v[128:129], v[0:1], v[2:3] op_sel:[0,0,1] op_sel_hi:[1,1,0] neg_lo:[0,0,1] neg_hi:[0,0,1]
	ds_read2_b64 v[0:3], v48 offset0:184 offset1:239
	v_mov_b32_e32 v103, v105
	s_waitcnt lgkmcnt(0)
	v_pk_mul_f32 v[66:67], v[106:107], v[2:3]
	s_nop 0
	v_pk_fma_f32 v[106:107], v[126:127], v[2:3], v[66:67] op_sel:[0,0,1] op_sel_hi:[1,1,0]
	v_pk_fma_f32 v[108:109], v[126:127], v[2:3], v[66:67] op_sel:[0,0,1] op_sel_hi:[1,1,0] neg_lo:[0,0,1] neg_hi:[0,0,1]
	v_pk_mul_f32 v[2:3], v[70:71], v[0:1]
	v_mov_b32_e32 v107, v109
	v_pk_fma_f32 v[110:111], v[114:115], v[0:1], v[2:3] op_sel:[0,0,1] op_sel_hi:[1,1,0]
	v_pk_fma_f32 v[112:113], v[114:115], v[0:1], v[2:3] op_sel:[0,0,1] op_sel_hi:[1,1,0] neg_lo:[0,0,1] neg_hi:[0,0,1]
	ds_read2_b64 v[0:3], v50 offset0:2 offset1:57
	v_mov_b32_e32 v111, v113
	v_pk_add_f32 v[84:85], v[110:111], v[82:83] neg_lo:[0,1] neg_hi:[0,1]
	v_pk_add_f32 v[72:73], v[106:107], v[88:89] neg_lo:[0,1] neg_hi:[0,1]
	s_waitcnt lgkmcnt(0)
	v_pk_mul_f32 v[66:67], v[144:145], v[2:3]
	s_nop 0
	v_pk_fma_f32 v[114:115], v[116:117], v[2:3], v[66:67] op_sel:[0,0,1] op_sel_hi:[1,1,0]
	v_pk_fma_f32 v[116:117], v[116:117], v[2:3], v[66:67] op_sel:[0,0,1] op_sel_hi:[1,1,0] neg_lo:[0,0,1] neg_hi:[0,0,1]
	v_pk_mul_f32 v[2:3], v[142:143], v[0:1]
	v_mov_b32_e32 v115, v117
	v_pk_fma_f32 v[118:119], v[124:125], v[0:1], v[2:3] op_sel:[0,0,1] op_sel_hi:[1,1,0]
	v_pk_fma_f32 v[66:67], v[124:125], v[0:1], v[2:3] op_sel:[0,0,1] op_sel_hi:[1,1,0] neg_lo:[0,0,1] neg_hi:[0,0,1]
	ds_read2_b64 v[0:3], v48 offset0:74 offset1:129
	v_mov_b32_e32 v119, v67
	ds_read2_b64 v[64:67], v36 offset1:55
	v_pk_add_f32 v[126:127], v[118:119], v[92:93] neg_lo:[0,1] neg_hi:[0,1]
	v_pk_mul_f32 v[76:77], v[72:73], s[0:1] op_sel_hi:[1,0]
	s_waitcnt lgkmcnt(1)
	v_pk_mul_f32 v[68:69], v[68:69], v[2:3]
	v_pk_mul_f32 v[72:73], v[72:73], s[10:11] op_sel_hi:[1,0]
	v_pk_fma_f32 v[120:121], v[122:123], v[2:3], v[68:69] op_sel:[0,0,1] op_sel_hi:[1,1,0]
	v_pk_fma_f32 v[2:3], v[122:123], v[2:3], v[68:69] op_sel:[0,0,1] op_sel_hi:[1,1,0] neg_lo:[0,0,1] neg_hi:[0,0,1]
	s_nop 0
	v_mov_b32_e32 v121, v3
	v_pk_add_f32 v[2:3], v[120:121], v[118:119] neg_lo:[0,1] neg_hi:[0,1]
	v_pk_add_f32 v[124:125], v[120:121], v[86:87] neg_lo:[0,1] neg_hi:[0,1]
	v_pk_add_f32 v[122:123], v[2:3], v[4:5]
	v_pk_add_f32 v[2:3], v[118:119], v[92:93]
	v_pk_mul_f32 v[4:5], v[124:125], s[0:1] op_sel_hi:[1,0]
	s_waitcnt lgkmcnt(0)
	v_pk_fma_f32 v[2:3], v[2:3], 0.5, v[64:65] op_sel_hi:[1,0,1] neg_lo:[1,0,0] neg_hi:[1,0,0]
	s_nop 0
	v_pk_add_f32 v[68:69], v[2:3], v[4:5] op_sel:[0,1] op_sel_hi:[1,0]
	v_pk_add_f32 v[2:3], v[2:3], v[4:5] op_sel:[0,1] op_sel_hi:[1,0] neg_lo:[0,1] neg_hi:[0,1]
	v_pk_mul_f32 v[4:5], v[126:127], s[10:11] op_sel_hi:[1,0]
	s_nop 0
	v_pk_add_f32 v[128:129], v[2:3], v[4:5] op_sel:[0,1] op_sel_hi:[1,0] neg_lo:[0,1] neg_hi:[0,1]
	v_pk_add_f32 v[2:3], v[64:65], v[120:121]
	v_pk_add_f32 v[130:131], v[68:69], v[4:5] op_sel:[0,1] op_sel_hi:[1,0]
	v_pk_add_f32 v[2:3], v[2:3], v[118:119]
	v_pk_add_f32 v[118:119], v[118:119], v[120:121] neg_lo:[0,1] neg_hi:[0,1]
	v_pk_add_f32 v[2:3], v[2:3], v[92:93]
	v_pk_add_f32 v[120:121], v[120:121], v[86:87]
	;; [unrolled: 1-line block ×3, first 2 shown]
	v_pk_add_f32 v[86:87], v[92:93], v[86:87] neg_lo:[0,1] neg_hi:[0,1]
	v_pk_fma_f32 v[64:65], v[120:121], 0.5, v[64:65] op_sel_hi:[1,0,1] neg_lo:[1,0,0] neg_hi:[1,0,0]
	v_pk_mul_f32 v[92:93], v[126:127], s[0:1] op_sel_hi:[1,0]
	v_pk_add_f32 v[86:87], v[118:119], v[86:87]
	v_pk_add_f32 v[118:119], v[64:65], v[92:93] op_sel:[0,1] op_sel_hi:[1,0] neg_lo:[0,1] neg_hi:[0,1]
	v_pk_add_f32 v[64:65], v[64:65], v[92:93] op_sel:[0,1] op_sel_hi:[1,0]
	v_pk_mul_f32 v[92:93], v[124:125], s[10:11] op_sel_hi:[1,0]
	v_mov_b32_e32 v135, v129
	v_pk_add_f32 v[64:65], v[64:65], v[92:93] op_sel:[0,1] op_sel_hi:[1,0] neg_lo:[0,1] neg_hi:[0,1]
	v_pk_add_f32 v[92:93], v[118:119], v[92:93] op_sel:[0,1] op_sel_hi:[1,0]
	v_mov_b32_e32 v119, v65
	v_mov_b32_e32 v118, v92
	;; [unrolled: 1-line block ×3, first 2 shown]
	v_pk_fma_f32 v[92:93], v[86:87], s[8:9], v[118:119] op_sel_hi:[1,0,1]
	v_pk_fma_f32 v[64:65], v[86:87], s[8:9], v[64:65] op_sel_hi:[1,0,1]
	v_mov_b32_e32 v134, v130
	ds_read2_b64 v[2:5], v52 offset0:92 offset1:147
	ds_read2_b64 v[68:71], v36 offset0:110 offset1:165
	s_waitcnt lgkmcnt(0)
	; wave barrier
	s_waitcnt lgkmcnt(0)
	ds_write2_b64 v36, v[64:65], v[92:93] offset0:154 offset1:231
	v_pk_fma_f32 v[64:65], v[122:123], s[8:9], v[134:135] op_sel_hi:[1,0,1]
	ds_write_b64 v36, v[64:65] offset:2464
	v_pk_add_f32 v[64:65], v[110:111], v[114:115] neg_lo:[0,1] neg_hi:[0,1]
	v_pk_mul_f32 v[86:87], v[84:85], s[0:1] op_sel_hi:[1,0]
	v_pk_add_f32 v[64:65], v[64:65], v[80:81]
	v_pk_add_f32 v[80:81], v[114:115], v[78:79]
	v_mov_b32_e32 v129, v131
	v_pk_fma_f32 v[80:81], v[80:81], 0.5, v[66:67] op_sel_hi:[1,0,1] neg_lo:[1,0,0] neg_hi:[1,0,0]
	v_pk_fma_f32 v[128:129], v[122:123], s[8:9], v[128:129] op_sel_hi:[1,0,1]
	v_pk_add_f32 v[92:93], v[80:81], v[86:87] op_sel:[0,1] op_sel_hi:[1,0] neg_lo:[0,1] neg_hi:[0,1]
	v_pk_add_f32 v[80:81], v[80:81], v[86:87] op_sel:[0,1] op_sel_hi:[1,0]
	v_pk_add_f32 v[86:87], v[114:115], v[78:79] neg_lo:[0,1] neg_hi:[0,1]
	ds_write2_b64 v36, v[132:133], v[128:129] offset1:77
	v_pk_mul_f32 v[112:113], v[86:87], s[10:11] op_sel_hi:[1,0]
	s_nop 0
	v_pk_add_f32 v[80:81], v[80:81], v[112:113] op_sel:[0,1] op_sel_hi:[1,0]
	v_pk_add_f32 v[92:93], v[92:93], v[112:113] op_sel:[0,1] op_sel_hi:[1,0] neg_lo:[0,1] neg_hi:[0,1]
	v_pk_add_f32 v[112:113], v[66:67], v[110:111]
	v_mov_b32_e32 v116, v92
	v_pk_add_f32 v[112:113], v[112:113], v[114:115]
	v_mov_b32_e32 v117, v81
	v_pk_add_f32 v[112:113], v[112:113], v[78:79]
	v_pk_fma_f32 v[116:117], v[64:65], s[8:9], v[116:117] op_sel_hi:[1,0,1]
	v_pk_add_f32 v[112:113], v[112:113], v[82:83]
	ds_write2_b64 v7, v[112:113], v[116:117] offset1:77
	v_pk_add_f32 v[112:113], v[110:111], v[82:83]
	v_pk_add_f32 v[78:79], v[78:79], v[82:83] neg_lo:[0,1] neg_hi:[0,1]
	v_pk_fma_f32 v[66:67], v[112:113], 0.5, v[66:67] op_sel_hi:[1,0,1] neg_lo:[1,0,0] neg_hi:[1,0,0]
	v_pk_mul_f32 v[82:83], v[86:87], s[0:1] op_sel_hi:[1,0]
	v_pk_add_f32 v[110:111], v[114:115], v[110:111] neg_lo:[0,1] neg_hi:[0,1]
	v_pk_add_f32 v[86:87], v[66:67], v[82:83] op_sel:[0,1] op_sel_hi:[1,0]
	v_pk_add_f32 v[66:67], v[66:67], v[82:83] op_sel:[0,1] op_sel_hi:[1,0] neg_lo:[0,1] neg_hi:[0,1]
	v_pk_mul_f32 v[82:83], v[84:85], s[10:11] op_sel_hi:[1,0]
	v_pk_add_f32 v[78:79], v[110:111], v[78:79]
	v_pk_add_f32 v[66:67], v[66:67], v[82:83] op_sel:[0,1] op_sel_hi:[1,0]
	v_pk_add_f32 v[82:83], v[86:87], v[82:83] op_sel:[0,1] op_sel_hi:[1,0] neg_lo:[0,1] neg_hi:[0,1]
	v_mov_b32_e32 v85, v67
	v_mov_b32_e32 v84, v82
	;; [unrolled: 1-line block ×4, first 2 shown]
	v_pk_fma_f32 v[82:83], v[78:79], s[8:9], v[84:85] op_sel_hi:[1,0,1]
	v_pk_fma_f32 v[66:67], v[78:79], s[8:9], v[66:67] op_sel_hi:[1,0,1]
	;; [unrolled: 1-line block ×3, first 2 shown]
	ds_write2_b64 v7, v[82:83], v[66:67] offset0:154 offset1:231
	ds_write_b64 v7, v[64:65] offset:2464
	v_pk_add_f32 v[64:65], v[106:107], v[102:103] neg_lo:[0,1] neg_hi:[0,1]
	v_pk_add_f32 v[66:67], v[88:89], v[74:75] neg_lo:[0,1] neg_hi:[0,1]
	v_accvgpr_read_b32 v7, a137
	v_pk_add_f32 v[64:65], v[64:65], v[66:67]
	v_pk_add_f32 v[66:67], v[102:103], v[74:75]
	v_accvgpr_read_b32 v110, a18
	v_pk_fma_f32 v[66:67], v[66:67], 0.5, v[68:69] op_sel_hi:[1,0,1] neg_lo:[1,0,0] neg_hi:[1,0,0]
	s_nop 0
	v_pk_add_f32 v[78:79], v[66:67], v[76:77] op_sel:[0,1] op_sel_hi:[1,0] neg_lo:[0,1] neg_hi:[0,1]
	v_pk_add_f32 v[66:67], v[66:67], v[76:77] op_sel:[0,1] op_sel_hi:[1,0]
	v_pk_add_f32 v[76:77], v[102:103], v[74:75] neg_lo:[0,1] neg_hi:[0,1]
	s_nop 0
	v_pk_mul_f32 v[80:81], v[76:77], s[10:11] op_sel_hi:[1,0]
	v_pk_mul_f32 v[76:77], v[76:77], s[0:1] op_sel_hi:[1,0]
	v_pk_add_f32 v[66:67], v[66:67], v[80:81] op_sel:[0,1] op_sel_hi:[1,0]
	v_pk_add_f32 v[78:79], v[78:79], v[80:81] op_sel:[0,1] op_sel_hi:[1,0] neg_lo:[0,1] neg_hi:[0,1]
	v_pk_add_f32 v[80:81], v[68:69], v[106:107]
	v_mov_b32_e32 v82, v78
	v_pk_add_f32 v[80:81], v[80:81], v[102:103]
	v_mov_b32_e32 v83, v67
	v_pk_add_f32 v[80:81], v[80:81], v[74:75]
	v_pk_fma_f32 v[82:83], v[64:65], s[8:9], v[82:83] op_sel_hi:[1,0,1]
	v_pk_add_f32 v[80:81], v[80:81], v[88:89]
	ds_write2_b64 v7, v[80:81], v[82:83] offset1:77
	v_pk_add_f32 v[82:83], v[106:107], v[88:89]
	v_pk_add_f32 v[80:81], v[102:103], v[106:107] neg_lo:[0,1] neg_hi:[0,1]
	v_pk_add_f32 v[74:75], v[74:75], v[88:89] neg_lo:[0,1] neg_hi:[0,1]
	v_pk_fma_f32 v[68:69], v[82:83], 0.5, v[68:69] op_sel_hi:[1,0,1] neg_lo:[1,0,0] neg_hi:[1,0,0]
	v_pk_add_f32 v[74:75], v[80:81], v[74:75]
	v_pk_add_f32 v[80:81], v[68:69], v[76:77] op_sel:[0,1] op_sel_hi:[1,0]
	v_pk_add_f32 v[68:69], v[68:69], v[76:77] op_sel:[0,1] op_sel_hi:[1,0] neg_lo:[0,1] neg_hi:[0,1]
	v_mov_b32_e32 v67, v79
	v_pk_add_f32 v[68:69], v[68:69], v[72:73] op_sel:[0,1] op_sel_hi:[1,0]
	v_pk_add_f32 v[72:73], v[80:81], v[72:73] op_sel:[0,1] op_sel_hi:[1,0] neg_lo:[0,1] neg_hi:[0,1]
	v_mov_b32_e32 v77, v69
	v_mov_b32_e32 v76, v72
	;; [unrolled: 1-line block ×3, first 2 shown]
	v_pk_fma_f32 v[64:65], v[64:65], s[8:9], v[66:67] op_sel_hi:[1,0,1]
	v_pk_fma_f32 v[72:73], v[74:75], s[8:9], v[76:77] op_sel_hi:[1,0,1]
	;; [unrolled: 1-line block ×3, first 2 shown]
	ds_write_b64 v7, v[64:65] offset:2464
	v_pk_add_f32 v[64:65], v[94:95], v[98:99] neg_lo:[0,1] neg_hi:[0,1]
	v_pk_add_f32 v[66:67], v[42:43], v[40:41] neg_lo:[0,1] neg_hi:[0,1]
	ds_write2_b64 v7, v[72:73], v[68:69] offset0:154 offset1:231
	v_pk_add_f32 v[64:65], v[64:65], v[66:67]
	v_pk_add_f32 v[66:67], v[98:99], v[40:41]
	v_pk_add_f32 v[68:69], v[94:95], v[42:43] neg_lo:[0,1] neg_hi:[0,1]
	v_pk_fma_f32 v[66:67], v[66:67], 0.5, v[70:71] op_sel_hi:[1,0,1] neg_lo:[1,0,0] neg_hi:[1,0,0]
	v_pk_mul_f32 v[72:73], v[68:69], s[0:1] op_sel_hi:[1,0]
	v_add_u32_e32 v7, 0x1800, v9
	v_pk_add_f32 v[74:75], v[66:67], v[72:73] op_sel:[0,1] op_sel_hi:[1,0] neg_lo:[0,1] neg_hi:[0,1]
	v_pk_add_f32 v[66:67], v[66:67], v[72:73] op_sel:[0,1] op_sel_hi:[1,0]
	v_pk_add_f32 v[72:73], v[98:99], v[40:41] neg_lo:[0,1] neg_hi:[0,1]
	v_pk_mul_f32 v[68:69], v[68:69], s[10:11] op_sel_hi:[1,0]
	v_pk_mul_f32 v[76:77], v[72:73], s[10:11] op_sel_hi:[1,0]
	s_nop 0
	v_pk_add_f32 v[66:67], v[66:67], v[76:77] op_sel:[0,1] op_sel_hi:[1,0]
	v_pk_add_f32 v[74:75], v[74:75], v[76:77] op_sel:[0,1] op_sel_hi:[1,0] neg_lo:[0,1] neg_hi:[0,1]
	v_pk_add_f32 v[76:77], v[70:71], v[94:95]
	v_mov_b32_e32 v78, v74
	v_pk_add_f32 v[76:77], v[76:77], v[98:99]
	v_mov_b32_e32 v79, v67
	v_pk_add_f32 v[76:77], v[76:77], v[40:41]
	v_pk_fma_f32 v[78:79], v[64:65], s[8:9], v[78:79] op_sel_hi:[1,0,1]
	v_pk_add_f32 v[76:77], v[76:77], v[42:43]
	ds_write2_b64 v7, v[76:77], v[78:79] offset0:2 offset1:79
	v_pk_add_f32 v[76:77], v[94:95], v[42:43]
	v_pk_add_f32 v[40:41], v[40:41], v[42:43] neg_lo:[0,1] neg_hi:[0,1]
	v_pk_fma_f32 v[70:71], v[76:77], 0.5, v[70:71] op_sel_hi:[1,0,1] neg_lo:[1,0,0] neg_hi:[1,0,0]
	v_pk_mul_f32 v[42:43], v[72:73], s[0:1] op_sel_hi:[1,0]
	v_pk_add_f32 v[76:77], v[98:99], v[94:95] neg_lo:[0,1] neg_hi:[0,1]
	v_pk_add_f32 v[72:73], v[70:71], v[42:43] op_sel:[0,1] op_sel_hi:[1,0]
	v_pk_add_f32 v[42:43], v[70:71], v[42:43] op_sel:[0,1] op_sel_hi:[1,0] neg_lo:[0,1] neg_hi:[0,1]
	v_pk_add_f32 v[40:41], v[76:77], v[40:41]
	v_pk_add_f32 v[42:43], v[42:43], v[68:69] op_sel:[0,1] op_sel_hi:[1,0]
	v_pk_add_f32 v[68:69], v[72:73], v[68:69] op_sel:[0,1] op_sel_hi:[1,0] neg_lo:[0,1] neg_hi:[0,1]
	v_mov_b32_e32 v71, v43
	v_mov_b32_e32 v70, v68
	;; [unrolled: 1-line block ×4, first 2 shown]
	v_pk_fma_f32 v[68:69], v[40:41], s[8:9], v[70:71] op_sel_hi:[1,0,1]
	v_pk_fma_f32 v[40:41], v[40:41], s[8:9], v[42:43] op_sel_hi:[1,0,1]
	;; [unrolled: 1-line block ×3, first 2 shown]
	v_pk_add_f32 v[64:65], v[2:3], v[46:47]
	ds_write2_b64 v7, v[68:69], v[40:41] offset0:156 offset1:233
	ds_write_b64 v9, v[10:11] offset:8624
	v_pk_add_f32 v[10:11], v[46:47], v[44:45] neg_lo:[0,1] neg_hi:[0,1]
	v_pk_add_f32 v[40:41], v[24:25], v[28:29] neg_lo:[0,1] neg_hi:[0,1]
	v_pk_add_f32 v[64:65], v[64:65], v[44:45]
	v_pk_add_f32 v[40:41], v[10:11], v[40:41]
	;; [unrolled: 1-line block ×3, first 2 shown]
	v_pk_add_f32 v[42:43], v[46:47], v[24:25] neg_lo:[0,1] neg_hi:[0,1]
	v_pk_add_f32 v[64:65], v[64:65], v[28:29]
	v_pk_add_f32 v[44:45], v[44:45], v[46:47] neg_lo:[0,1] neg_hi:[0,1]
	v_pk_add_f32 v[46:47], v[46:47], v[24:25]
	v_pk_fma_f32 v[10:11], v[10:11], 0.5, v[2:3] op_sel_hi:[1,0,1] neg_lo:[1,0,0] neg_hi:[1,0,0]
	v_pk_add_f32 v[64:65], v[64:65], v[24:25]
	v_pk_add_f32 v[24:25], v[28:29], v[24:25] neg_lo:[0,1] neg_hi:[0,1]
	v_pk_fma_f32 v[2:3], v[46:47], 0.5, v[2:3] op_sel_hi:[1,0,1] neg_lo:[1,0,0] neg_hi:[1,0,0]
	v_pk_add_f32 v[24:25], v[44:45], v[24:25]
	v_pk_fma_f32 v[44:45], v[62:63], s[0:1], v[2:3] op_sel:[1,0,0] op_sel_hi:[0,0,1] neg_lo:[1,0,0] neg_hi:[1,0,0]
	v_pk_fma_f32 v[2:3], v[62:63], s[0:1], v[2:3] op_sel:[1,0,0] op_sel_hi:[0,0,1]
	v_pk_fma_f32 v[60:61], v[42:43], s[0:1], v[10:11] op_sel:[1,0,0] op_sel_hi:[0,0,1]
	v_pk_fma_f32 v[10:11], v[42:43], s[0:1], v[10:11] op_sel:[1,0,0] op_sel_hi:[0,0,1] neg_lo:[1,0,0] neg_hi:[1,0,0]
	v_pk_fma_f32 v[2:3], v[42:43], s[10:11], v[2:3] op_sel:[1,0,0] op_sel_hi:[0,0,1] neg_lo:[1,0,0] neg_hi:[1,0,0]
	v_pk_fma_f32 v[42:43], v[42:43], s[10:11], v[44:45] op_sel:[1,0,0] op_sel_hi:[0,0,1]
	v_mov_b32_e32 v44, v42
	v_mov_b32_e32 v45, v3
	;; [unrolled: 1-line block ×3, first 2 shown]
	v_pk_fma_f32 v[44:45], v[24:25], s[8:9], v[44:45] op_sel_hi:[1,0,1]
	v_pk_fma_f32 v[2:3], v[24:25], s[8:9], v[2:3] op_sel_hi:[1,0,1]
	v_pk_add_f32 v[24:25], v[34:35], v[14:15]
	ds_write2_b64 v39, v[2:3], v[44:45] offset0:154 offset1:231
	v_pk_add_f32 v[2:3], v[32:33], v[34:35] neg_lo:[0,1] neg_hi:[0,1]
	v_pk_add_f32 v[44:45], v[16:17], v[14:15] neg_lo:[0,1] neg_hi:[0,1]
	v_pk_fma_f32 v[10:11], v[62:63], s[10:11], v[10:11] op_sel:[1,0,0] op_sel_hi:[0,0,1] neg_lo:[1,0,0] neg_hi:[1,0,0]
	v_pk_fma_f32 v[60:61], v[62:63], s[10:11], v[60:61] op_sel:[1,0,0] op_sel_hi:[0,0,1]
	v_pk_fma_f32 v[24:25], v[24:25], 0.5, v[4:5] op_sel_hi:[1,0,1] neg_lo:[1,0,0] neg_hi:[1,0,0]
	v_pk_add_f32 v[2:3], v[2:3], v[44:45]
	v_pk_add_f32 v[44:45], v[32:33], v[16:17] neg_lo:[0,1] neg_hi:[0,1]
	v_mov_b32_e32 v67, v11
	v_mov_b32_e32 v11, v61
	;; [unrolled: 1-line block ×4, first 2 shown]
	v_pk_fma_f32 v[60:61], v[44:45], s[0:1], v[24:25] op_sel:[1,0,0] op_sel_hi:[0,0,1]
	v_pk_fma_f32 v[24:25], v[44:45], s[0:1], v[24:25] op_sel:[1,0,0] op_sel_hi:[0,0,1] neg_lo:[1,0,0] neg_hi:[1,0,0]
	v_pk_fma_f32 v[10:11], v[40:41], s[8:9], v[10:11] op_sel_hi:[1,0,1]
	v_mov_b32_e32 v7, v13
	v_pk_add_f32 v[20:21], v[26:27], v[8:9]
	v_pk_fma_f32 v[40:41], v[40:41], s[8:9], v[66:67] op_sel_hi:[1,0,1]
	v_pk_fma_f32 v[24:25], v[54:55], s[10:11], v[24:25] op_sel:[1,0,0] op_sel_hi:[0,0,1] neg_lo:[1,0,0] neg_hi:[1,0,0]
	v_pk_fma_f32 v[60:61], v[54:55], s[10:11], v[60:61] op_sel:[1,0,0] op_sel_hi:[0,0,1]
	v_pk_fma_f32 v[20:21], v[20:21], 0.5, v[0:1] op_sel_hi:[1,0,1] neg_lo:[1,0,0] neg_hi:[1,0,0]
	v_pk_add_f32 v[22:23], v[30:31], v[6:7] neg_lo:[0,1] neg_hi:[0,1]
	ds_write_b64 v39, v[40:41] offset:2464
	v_mov_b32_e32 v40, v60
	v_mov_b32_e32 v41, v25
	;; [unrolled: 1-line block ×3, first 2 shown]
	v_pk_add_f32 v[60:61], v[4:5], v[32:33]
	v_pk_add_f32 v[28:29], v[26:27], v[8:9] neg_lo:[0,1] neg_hi:[0,1]
	v_pk_fma_f32 v[46:47], v[22:23], s[0:1], v[20:21] op_sel:[1,0,0] op_sel_hi:[0,0,1]
	v_pk_fma_f32 v[20:21], v[22:23], s[0:1], v[20:21] op_sel:[1,0,0] op_sel_hi:[0,0,1] neg_lo:[1,0,0] neg_hi:[1,0,0]
	v_pk_add_f32 v[60:61], v[60:61], v[34:35]
	v_pk_fma_f32 v[20:21], v[28:29], s[10:11], v[20:21] op_sel:[1,0,0] op_sel_hi:[0,0,1] neg_lo:[1,0,0] neg_hi:[1,0,0]
	v_pk_add_f32 v[60:61], v[60:61], v[14:15]
	v_mov_b32_e32 v43, v21
	v_pk_fma_f32 v[40:41], v[2:3], s[8:9], v[40:41] op_sel_hi:[1,0,1]
	v_pk_add_f32 v[60:61], v[60:61], v[16:17]
	v_pk_fma_f32 v[2:3], v[2:3], s[8:9], v[24:25] op_sel_hi:[1,0,1]
	v_accvgpr_read_b32 v21, a135
	ds_write2_b64 v39, v[64:65], v[10:11] offset1:77
	ds_write2_b64 v21, v[60:61], v[2:3] offset1:77
	v_pk_add_f32 v[2:3], v[32:33], v[16:17]
	v_pk_add_f32 v[14:15], v[14:15], v[16:17] neg_lo:[0,1] neg_hi:[0,1]
	v_pk_fma_f32 v[2:3], v[2:3], 0.5, v[4:5] op_sel_hi:[1,0,1] neg_lo:[1,0,0] neg_hi:[1,0,0]
	v_pk_add_f32 v[4:5], v[34:35], v[32:33] neg_lo:[0,1] neg_hi:[0,1]
	v_pk_add_f32 v[10:11], v[30:31], v[26:27] neg_lo:[0,1] neg_hi:[0,1]
	v_pk_add_f32 v[4:5], v[4:5], v[14:15]
	v_pk_fma_f32 v[14:15], v[54:55], s[0:1], v[2:3] op_sel:[1,0,0] op_sel_hi:[0,0,1] neg_lo:[1,0,0] neg_hi:[1,0,0]
	v_pk_fma_f32 v[2:3], v[54:55], s[0:1], v[2:3] op_sel:[1,0,0] op_sel_hi:[0,0,1]
	v_pk_fma_f32 v[2:3], v[44:45], s[10:11], v[2:3] op_sel:[1,0,0] op_sel_hi:[0,0,1] neg_lo:[1,0,0] neg_hi:[1,0,0]
	v_pk_fma_f32 v[14:15], v[44:45], s[10:11], v[14:15] op_sel:[1,0,0] op_sel_hi:[0,0,1]
	v_mov_b32_e32 v16, v14
	v_mov_b32_e32 v17, v3
	;; [unrolled: 1-line block ×3, first 2 shown]
	v_pk_fma_f32 v[16:17], v[4:5], s[8:9], v[16:17] op_sel_hi:[1,0,1]
	v_pk_fma_f32 v[2:3], v[4:5], s[8:9], v[2:3] op_sel_hi:[1,0,1]
	ds_write2_b64 v21, v[2:3], v[16:17] offset0:154 offset1:231
	ds_write_b64 v21, v[40:41] offset:2464
	v_pk_add_f32 v[2:3], v[0:1], v[30:31]
	v_pk_add_f32 v[12:13], v[6:7], v[8:9] neg_lo:[0,1] neg_hi:[0,1]
	v_pk_fma_f32 v[46:47], v[28:29], s[10:11], v[46:47] op_sel:[1,0,0] op_sel_hi:[0,0,1]
	v_pk_add_f32 v[2:3], v[2:3], v[26:27]
	v_pk_add_f32 v[18:19], v[10:11], v[12:13]
	;; [unrolled: 1-line block ×3, first 2 shown]
	v_mov_b32_e32 v21, v47
	v_accvgpr_read_b32 v15, a141
	v_pk_add_f32 v[2:3], v[2:3], v[6:7]
	v_pk_fma_f32 v[4:5], v[18:19], s[8:9], v[20:21] op_sel_hi:[1,0,1]
	v_add_u32_e32 v14, 0x3000, v15
	ds_write2_b64 v14, v[2:3], v[4:5] offset0:4 offset1:81
	v_pk_add_f32 v[2:3], v[30:31], v[6:7]
	v_pk_add_f32 v[4:5], v[8:9], v[6:7] neg_lo:[0,1] neg_hi:[0,1]
	v_pk_fma_f32 v[0:1], v[2:3], 0.5, v[0:1] op_sel_hi:[1,0,1] neg_lo:[1,0,0] neg_hi:[1,0,0]
	v_pk_add_f32 v[2:3], v[26:27], v[30:31] neg_lo:[0,1] neg_hi:[0,1]
	v_mov_b32_e32 v42, v46
	v_pk_add_f32 v[2:3], v[2:3], v[4:5]
	v_pk_fma_f32 v[4:5], v[28:29], s[0:1], v[0:1] op_sel:[1,0,0] op_sel_hi:[0,0,1] neg_lo:[1,0,0] neg_hi:[1,0,0]
	v_pk_fma_f32 v[0:1], v[28:29], s[0:1], v[0:1] op_sel:[1,0,0] op_sel_hi:[0,0,1]
	v_pk_fma_f32 v[0:1], v[22:23], s[10:11], v[0:1] op_sel:[1,0,0] op_sel_hi:[0,0,1] neg_lo:[1,0,0] neg_hi:[1,0,0]
	v_pk_fma_f32 v[4:5], v[22:23], s[10:11], v[4:5] op_sel:[1,0,0] op_sel_hi:[0,0,1]
	v_mov_b32_e32 v6, v4
	v_mov_b32_e32 v7, v1
	;; [unrolled: 1-line block ×3, first 2 shown]
	v_pk_fma_f32 v[6:7], v[2:3], s[8:9], v[6:7] op_sel_hi:[1,0,1]
	v_pk_fma_f32 v[0:1], v[2:3], s[8:9], v[0:1] op_sel_hi:[1,0,1]
	v_accvgpr_read_b32 v8, a50
	v_pk_fma_f32 v[42:43], v[18:19], s[8:9], v[42:43] op_sel_hi:[1,0,1]
	ds_write2_b64 v14, v[0:1], v[6:7] offset0:158 offset1:235
	ds_write_b64 v15, v[42:43] offset:14784
	s_waitcnt lgkmcnt(0)
	; wave barrier
	s_waitcnt lgkmcnt(0)
	ds_read2_b64 v[0:3], v48 offset0:74 offset1:129
	ds_read2_b64 v[24:27], v36 offset1:55
	ds_read2_b64 v[4:7], v50 offset0:2 offset1:57
	ds_read2_b64 v[18:21], v56 offset0:76 offset1:131
	;; [unrolled: 1-line block ×3, first 2 shown]
	v_accvgpr_read_b32 v9, a51
	s_waitcnt lgkmcnt(4)
	v_pk_mul_f32 v[8:9], v[8:9], v[2:3]
	v_mov_b32_e32 v10, s2
	v_pk_fma_f32 v[44:45], v[220:221], v[2:3], v[8:9] op_sel:[0,0,1] op_sel_hi:[1,1,0]
	v_pk_fma_f32 v[2:3], v[220:221], v[2:3], v[8:9] op_sel:[0,0,1] op_sel_hi:[1,1,0] neg_lo:[0,0,1] neg_hi:[0,0,1]
	v_mov_b32_e32 v11, s3
	v_mov_b32_e32 v45, v3
	s_waitcnt lgkmcnt(2)
	v_pk_mul_f32 v[2:3], v[248:249], v[4:5]
	v_pk_add_f32 v[8:9], v[24:25], v[44:45]
	v_pk_fma_f32 v[46:47], v[222:223], v[4:5], v[2:3] op_sel:[0,0,1] op_sel_hi:[1,1,0]
	v_pk_fma_f32 v[2:3], v[222:223], v[4:5], v[2:3] op_sel:[0,0,1] op_sel_hi:[1,1,0] neg_lo:[0,0,1] neg_hi:[0,0,1]
	v_mad_u64_u32 v[12:13], s[2:3], s6, v110, 0
	v_mov_b32_e32 v47, v3
	v_accvgpr_read_b32 v2, a36
	v_accvgpr_read_b32 v3, a37
	s_waitcnt lgkmcnt(1)
	v_pk_mul_f32 v[2:3], v[2:3], v[20:21]
	v_pk_add_f32 v[8:9], v[8:9], v[46:47]
	v_pk_fma_f32 v[54:55], v[156:157], v[20:21], v[2:3] op_sel:[0,0,1] op_sel_hi:[1,1,0]
	v_pk_fma_f32 v[2:3], v[156:157], v[20:21], v[2:3] op_sel:[0,0,1] op_sel_hi:[1,1,0] neg_lo:[0,0,1] neg_hi:[0,0,1]
	ds_read2_b64 v[20:23], v56 offset0:186 offset1:241
	v_mov_b32_e32 v55, v3
	s_waitcnt lgkmcnt(1)
	v_pk_mul_f32 v[2:3], v[250:251], v[14:15]
	v_pk_add_f32 v[8:9], v[8:9], v[54:55]
	v_pk_fma_f32 v[60:61], v[158:159], v[14:15], v[2:3] op_sel:[0,0,1] op_sel_hi:[1,1,0]
	v_pk_fma_f32 v[2:3], v[158:159], v[14:15], v[2:3] op_sel:[0,0,1] op_sel_hi:[1,1,0] neg_lo:[0,0,1] neg_hi:[0,0,1]
	v_pk_add_f32 v[102:103], v[46:47], v[54:55] neg_lo:[0,1] neg_hi:[0,1]
	v_mov_b32_e32 v61, v3
	ds_read2_b64 v[2:5], v48 offset0:184 offset1:239
	v_pk_add_f32 v[40:41], v[8:9], v[60:61]
	v_accvgpr_read_b32 v8, a12
	v_accvgpr_read_b32 v9, a13
	v_pk_add_f32 v[106:107], v[44:45], v[46:47] neg_lo:[0,1] neg_hi:[0,1]
	s_waitcnt lgkmcnt(0)
	v_pk_mul_f32 v[8:9], v[8:9], v[2:3]
	v_pk_add_f32 v[108:109], v[60:61], v[54:55] neg_lo:[0,1] neg_hi:[0,1]
	v_pk_fma_f32 v[62:63], v[240:241], v[2:3], v[8:9] op_sel:[0,0,1] op_sel_hi:[1,1,0]
	v_pk_fma_f32 v[2:3], v[240:241], v[2:3], v[8:9] op_sel:[0,0,1] op_sel_hi:[1,1,0] neg_lo:[0,0,1] neg_hi:[0,0,1]
	v_pk_mul_f32 v[104:105], v[102:103], s[10:11] op_sel_hi:[1,0]
	v_mov_b32_e32 v63, v3
	v_pk_mul_f32 v[2:3], v[246:247], v[6:7]
	v_pk_add_f32 v[106:107], v[106:107], v[108:109]
	v_pk_fma_f32 v[64:65], v[242:243], v[6:7], v[2:3] op_sel:[0,0,1] op_sel_hi:[1,1,0]
	v_pk_fma_f32 v[2:3], v[242:243], v[6:7], v[2:3] op_sel:[0,0,1] op_sel_hi:[1,1,0] neg_lo:[0,0,1] neg_hi:[0,0,1]
	s_nop 0
	v_mov_b32_e32 v65, v3
	v_accvgpr_read_b32 v2, a34
	v_accvgpr_read_b32 v3, a35
	v_pk_mul_f32 v[2:3], v[2:3], v[20:21]
	s_nop 0
	v_pk_fma_f32 v[66:67], v[236:237], v[20:21], v[2:3] op_sel:[0,0,1] op_sel_hi:[1,1,0]
	v_pk_fma_f32 v[2:3], v[236:237], v[20:21], v[2:3] op_sel:[0,0,1] op_sel_hi:[1,1,0] neg_lo:[0,0,1] neg_hi:[0,0,1]
	s_nop 0
	v_mov_b32_e32 v67, v3
	v_pk_mul_f32 v[2:3], v[244:245], v[16:17]
	s_nop 0
	v_pk_fma_f32 v[68:69], v[238:239], v[16:17], v[2:3] op_sel:[0,0,1] op_sel_hi:[1,1,0]
	v_pk_fma_f32 v[2:3], v[238:239], v[16:17], v[2:3] op_sel:[0,0,1] op_sel_hi:[1,1,0] neg_lo:[0,0,1] neg_hi:[0,0,1]
	ds_read2_b64 v[6:9], v36 offset0:110 offset1:165
	ds_read2_b64 v[14:17], v50 offset0:112 offset1:167
	;; [unrolled: 1-line block ×3, first 2 shown]
	v_mov_b32_e32 v69, v3
	v_pk_add_f32 v[2:3], v[26:27], v[62:63]
	ds_read2_b64 v[32:35], v91 offset0:40 offset1:95
	v_pk_add_f32 v[2:3], v[2:3], v[64:65]
	s_nop 0
	v_pk_add_f32 v[2:3], v[2:3], v[66:67]
	s_nop 0
	v_pk_add_f32 v[42:43], v[2:3], v[68:69]
	v_accvgpr_read_b32 v2, a32
	v_accvgpr_read_b32 v3, a33
	v_pk_mul_f32 v[2:3], v[2:3], v[4:5]
	s_nop 0
	v_pk_fma_f32 v[70:71], v[152:153], v[4:5], v[2:3] op_sel:[0,0,1] op_sel_hi:[1,1,0]
	v_pk_fma_f32 v[2:3], v[152:153], v[4:5], v[2:3] op_sel:[0,0,1] op_sel_hi:[1,1,0] neg_lo:[0,0,1] neg_hi:[0,0,1]
	s_nop 0
	v_mov_b32_e32 v71, v3
	s_waitcnt lgkmcnt(2)
	v_pk_mul_f32 v[2:3], v[252:253], v[14:15]
	s_nop 0
	v_pk_fma_f32 v[72:73], v[154:155], v[14:15], v[2:3] op_sel:[0,0,1] op_sel_hi:[1,1,0]
	v_pk_fma_f32 v[2:3], v[154:155], v[14:15], v[2:3] op_sel:[0,0,1] op_sel_hi:[1,1,0] neg_lo:[0,0,1] neg_hi:[0,0,1]
	s_nop 0
	v_mov_b32_e32 v73, v3
	v_accvgpr_read_b32 v2, a10
	v_accvgpr_read_b32 v3, a11
	v_pk_mul_f32 v[2:3], v[2:3], v[22:23]
	s_nop 0
	v_pk_fma_f32 v[74:75], v[160:161], v[22:23], v[2:3] op_sel:[0,0,1] op_sel_hi:[1,1,0]
	v_pk_fma_f32 v[2:3], v[160:161], v[22:23], v[2:3] op_sel:[0,0,1] op_sel_hi:[1,1,0] neg_lo:[0,0,1] neg_hi:[0,0,1]
	ds_read2_b64 v[20:23], v58 offset0:38 offset1:93
	v_mov_b32_e32 v75, v3
	v_accvgpr_read_b32 v2, a124
	v_accvgpr_read_b32 v3, a125
	s_waitcnt lgkmcnt(2)
	v_pk_mul_f32 v[2:3], v[2:3], v[28:29]
	s_nop 0
	v_pk_fma_f32 v[76:77], v[162:163], v[28:29], v[2:3] op_sel:[0,0,1] op_sel_hi:[1,1,0]
	v_pk_fma_f32 v[2:3], v[162:163], v[28:29], v[2:3] op_sel:[0,0,1] op_sel_hi:[1,1,0] neg_lo:[0,0,1] neg_hi:[0,0,1]
	s_nop 0
	v_mov_b32_e32 v77, v3
	v_pk_add_f32 v[2:3], v[6:7], v[70:71]
	s_nop 0
	v_pk_add_f32 v[2:3], v[2:3], v[72:73]
	s_nop 0
	;; [unrolled: 2-line block ×3, first 2 shown]
	v_pk_add_f32 v[78:79], v[2:3], v[76:77]
	v_accvgpr_read_b32 v2, a26
	v_accvgpr_read_b32 v3, a27
	s_waitcnt lgkmcnt(0)
	v_pk_mul_f32 v[2:3], v[2:3], v[20:21]
	s_nop 0
	v_pk_fma_f32 v[80:81], v[164:165], v[20:21], v[2:3] op_sel:[0,0,1] op_sel_hi:[1,1,0]
	v_pk_fma_f32 v[2:3], v[164:165], v[20:21], v[2:3] op_sel:[0,0,1] op_sel_hi:[1,1,0] neg_lo:[0,0,1] neg_hi:[0,0,1]
	s_nop 0
	v_mov_b32_e32 v81, v3
	v_accvgpr_read_b32 v2, a114
	v_accvgpr_read_b32 v3, a115
	v_pk_mul_f32 v[2:3], v[2:3], v[16:17]
	s_nop 0
	v_pk_fma_f32 v[82:83], v[166:167], v[16:17], v[2:3] op_sel:[0,0,1] op_sel_hi:[1,1,0]
	v_pk_fma_f32 v[2:3], v[166:167], v[16:17], v[2:3] op_sel:[0,0,1] op_sel_hi:[1,1,0] neg_lo:[0,0,1] neg_hi:[0,0,1]
	s_nop 0
	v_mov_b32_e32 v83, v3
	v_accvgpr_read_b32 v2, a22
	v_accvgpr_read_b32 v3, a23
	v_pk_mul_f32 v[2:3], v[2:3], v[32:33]
	s_nop 0
	v_pk_fma_f32 v[84:85], v[200:201], v[32:33], v[2:3] op_sel:[0,0,1] op_sel_hi:[1,1,0]
	v_pk_fma_f32 v[2:3], v[200:201], v[32:33], v[2:3] op_sel:[0,0,1] op_sel_hi:[1,1,0] neg_lo:[0,0,1] neg_hi:[0,0,1]
	v_accvgpr_read_b32 v33, a3
	v_mov_b32_e32 v85, v3
	v_accvgpr_read_b32 v2, a122
	v_accvgpr_read_b32 v3, a123
	v_pk_mul_f32 v[2:3], v[2:3], v[30:31]
	v_accvgpr_read_b32 v32, a2
	v_pk_fma_f32 v[86:87], v[202:203], v[30:31], v[2:3] op_sel:[0,0,1] op_sel_hi:[1,1,0]
	v_pk_fma_f32 v[2:3], v[202:203], v[30:31], v[2:3] op_sel:[0,0,1] op_sel_hi:[1,1,0] neg_lo:[0,0,1] neg_hi:[0,0,1]
	v_pk_mul_f32 v[32:33], v[32:33], v[22:23]
	v_mov_b32_e32 v87, v3
	v_pk_add_f32 v[2:3], v[8:9], v[80:81]
	v_pk_fma_f32 v[88:89], v[192:193], v[22:23], v[32:33] op_sel:[0,0,1] op_sel_hi:[1,1,0]
	v_pk_add_f32 v[2:3], v[2:3], v[82:83]
	v_pk_fma_f32 v[22:23], v[192:193], v[22:23], v[32:33] op_sel:[0,0,1] op_sel_hi:[1,1,0] neg_lo:[0,0,1] neg_hi:[0,0,1]
	v_pk_add_f32 v[2:3], v[2:3], v[84:85]
	v_mov_b32_e32 v89, v23
	v_pk_add_f32 v[20:21], v[2:3], v[86:87]
	ds_read2_b64 v[2:5], v52 offset0:92 offset1:147
	ds_read2_b64 v[14:17], v38 offset0:94 offset1:149
	;; [unrolled: 1-line block ×3, first 2 shown]
	v_accvgpr_read_b32 v22, a118
	v_accvgpr_read_b32 v23, a119
	ds_write2_b64 v36, v[40:41], v[42:43] offset1:55
	s_waitcnt lgkmcnt(2)
	v_pk_mul_f32 v[22:23], v[22:23], v[14:15]
	ds_read2_b64 v[40:43], v91 offset0:150 offset1:205
	v_pk_fma_f32 v[92:93], v[194:195], v[14:15], v[22:23] op_sel:[0,0,1] op_sel_hi:[1,1,0]
	v_pk_fma_f32 v[14:15], v[194:195], v[14:15], v[22:23] op_sel:[0,0,1] op_sel_hi:[1,1,0] neg_lo:[0,0,1] neg_hi:[0,0,1]
	ds_write2_b64 v36, v[78:79], v[20:21] offset0:110 offset1:165
	v_mov_b32_e32 v93, v15
	v_accvgpr_read_b32 v14, a14
	v_accvgpr_read_b32 v15, a15
	v_pk_mul_f32 v[14:15], v[14:15], v[34:35]
	ds_read_b64 v[98:99], v36 offset:14960
	v_pk_fma_f32 v[94:95], v[184:185], v[34:35], v[14:15] op_sel:[0,0,1] op_sel_hi:[1,1,0]
	v_pk_fma_f32 v[14:15], v[184:185], v[34:35], v[14:15] op_sel:[0,0,1] op_sel_hi:[1,1,0] neg_lo:[0,0,1] neg_hi:[0,0,1]
	ds_read2_b64 v[32:35], v58 offset0:148 offset1:203
	v_mov_b32_e32 v95, v15
	v_accvgpr_read_b32 v14, a120
	v_accvgpr_read_b32 v15, a121
	s_waitcnt lgkmcnt(5)
	v_pk_mul_f32 v[14:15], v[14:15], v[28:29]
	s_nop 0
	v_pk_fma_f32 v[96:97], v[186:187], v[28:29], v[14:15] op_sel:[0,0,1] op_sel_hi:[1,1,0]
	v_pk_fma_f32 v[14:15], v[186:187], v[28:29], v[14:15] op_sel:[0,0,1] op_sel_hi:[1,1,0] neg_lo:[0,0,1] neg_hi:[0,0,1]
	s_nop 0
	v_mov_b32_e32 v97, v15
	v_pk_add_f32 v[14:15], v[2:3], v[88:89]
	s_nop 0
	v_pk_add_f32 v[14:15], v[14:15], v[92:93]
	s_nop 0
	;; [unrolled: 2-line block ×3, first 2 shown]
	v_pk_add_f32 v[28:29], v[14:15], v[96:97]
	v_accvgpr_read_b32 v15, a9
	v_accvgpr_read_b32 v14, a8
	s_waitcnt lgkmcnt(0)
	v_pk_mul_f32 v[14:15], v[14:15], v[32:33]
	s_nop 0
	v_pk_fma_f32 v[22:23], v[204:205], v[32:33], v[14:15] op_sel:[0,0,1] op_sel_hi:[1,1,0]
	v_pk_fma_f32 v[14:15], v[204:205], v[32:33], v[14:15] op_sel:[0,0,1] op_sel_hi:[1,1,0] neg_lo:[0,0,1] neg_hi:[0,0,1]
	s_nop 0
	v_mov_b32_e32 v23, v15
	v_accvgpr_read_b32 v14, a112
	v_accvgpr_read_b32 v15, a113
	v_pk_mul_f32 v[14:15], v[14:15], v[16:17]
	s_nop 0
	v_pk_fma_f32 v[32:33], v[206:207], v[16:17], v[14:15] op_sel:[0,0,1] op_sel_hi:[1,1,0]
	v_pk_fma_f32 v[14:15], v[206:207], v[16:17], v[14:15] op_sel:[0,0,1] op_sel_hi:[1,1,0] neg_lo:[0,0,1] neg_hi:[0,0,1]
	s_nop 0
	v_mov_b32_e32 v33, v15
	v_accvgpr_read_b32 v15, a7
	v_accvgpr_read_b32 v14, a6
	;; [unrolled: 8-line block ×3, first 2 shown]
	v_pk_mul_f32 v[14:15], v[14:15], v[30:31]
	s_nop 0
	v_pk_fma_f32 v[40:41], v[198:199], v[30:31], v[14:15] op_sel:[0,0,1] op_sel_hi:[1,1,0]
	v_pk_fma_f32 v[14:15], v[198:199], v[30:31], v[14:15] op_sel:[0,0,1] op_sel_hi:[1,1,0] neg_lo:[0,0,1] neg_hi:[0,0,1]
	s_nop 0
	v_mov_b32_e32 v41, v15
	v_pk_add_f32 v[14:15], v[4:5], v[22:23]
	s_nop 0
	v_pk_add_f32 v[14:15], v[14:15], v[32:33]
	s_nop 0
	;; [unrolled: 2-line block ×3, first 2 shown]
	v_pk_add_f32 v[30:31], v[14:15], v[40:41]
	v_accvgpr_read_b32 v15, a5
	v_accvgpr_read_b32 v14, a4
	v_pk_mul_f32 v[16:17], v[14:15], v[34:35]
	s_nop 0
	v_pk_fma_f32 v[14:15], v[188:189], v[34:35], v[16:17] op_sel:[0,0,1] op_sel_hi:[1,1,0]
	v_pk_fma_f32 v[16:17], v[188:189], v[34:35], v[16:17] op_sel:[0,0,1] op_sel_hi:[1,1,0] neg_lo:[0,0,1] neg_hi:[0,0,1]
	s_nop 0
	v_mov_b32_e32 v15, v17
	v_accvgpr_read_b32 v16, a110
	v_accvgpr_read_b32 v17, a111
	v_pk_mul_f32 v[20:21], v[16:17], v[18:19]
	s_nop 0
	v_pk_fma_f32 v[16:17], v[190:191], v[18:19], v[20:21] op_sel:[0,0,1] op_sel_hi:[1,1,0]
	v_pk_fma_f32 v[18:19], v[190:191], v[18:19], v[20:21] op_sel:[0,0,1] op_sel_hi:[1,1,0] neg_lo:[0,0,1] neg_hi:[0,0,1]
	s_nop 0
	v_mov_b32_e32 v17, v19
	v_accvgpr_read_b32 v19, a1
	v_accvgpr_read_b32 v18, a0
	v_pk_mul_f32 v[20:21], v[18:19], v[42:43]
	s_nop 0
	v_pk_fma_f32 v[18:19], v[180:181], v[42:43], v[20:21] op_sel:[0,0,1] op_sel_hi:[1,1,0]
	v_pk_fma_f32 v[20:21], v[180:181], v[42:43], v[20:21] op_sel:[0,0,1] op_sel_hi:[1,1,0] neg_lo:[0,0,1] neg_hi:[0,0,1]
	v_pk_add_f32 v[42:43], v[46:47], v[54:55]
	v_mov_b32_e32 v19, v21
	v_accvgpr_read_b32 v20, a126
	v_accvgpr_read_b32 v21, a127
	v_pk_mul_f32 v[34:35], v[20:21], v[98:99]
	v_pk_fma_f32 v[42:43], v[42:43], 0.5, v[24:25] op_sel_hi:[1,0,1] neg_lo:[1,0,0] neg_hi:[1,0,0]
	v_pk_fma_f32 v[20:21], v[182:183], v[98:99], v[34:35] op_sel:[0,0,1] op_sel_hi:[1,1,0]
	v_pk_fma_f32 v[34:35], v[182:183], v[98:99], v[34:35] op_sel:[0,0,1] op_sel_hi:[1,1,0] neg_lo:[0,0,1] neg_hi:[0,0,1]
	v_pk_add_f32 v[98:99], v[44:45], v[60:61] neg_lo:[0,1] neg_hi:[0,1]
	v_mov_b32_e32 v21, v35
	v_pk_mul_f32 v[100:101], v[98:99], s[0:1] op_sel_hi:[1,0]
	v_pk_add_f32 v[34:35], v[0:1], v[14:15]
	v_pk_add_f32 v[108:109], v[42:43], v[100:101] op_sel:[0,1] op_sel_hi:[1,0] neg_lo:[0,1] neg_hi:[0,1]
	v_pk_add_f32 v[42:43], v[42:43], v[100:101] op_sel:[0,1] op_sel_hi:[1,0]
	v_pk_add_f32 v[100:101], v[108:109], v[104:105] op_sel:[0,1] op_sel_hi:[1,0] neg_lo:[0,1] neg_hi:[0,1]
	v_pk_add_f32 v[108:109], v[44:45], v[60:61]
	v_pk_add_f32 v[44:45], v[46:47], v[44:45] neg_lo:[0,1] neg_hi:[0,1]
	v_pk_add_f32 v[46:47], v[54:55], v[60:61] neg_lo:[0,1] neg_hi:[0,1]
	v_pk_fma_f32 v[24:25], v[108:109], 0.5, v[24:25] op_sel_hi:[1,0,1] neg_lo:[1,0,0] neg_hi:[1,0,0]
	v_pk_add_f32 v[44:45], v[44:45], v[46:47]
	v_pk_mul_f32 v[46:47], v[102:103], s[0:1] op_sel_hi:[1,0]
	v_pk_mul_f32 v[54:55], v[98:99], s[10:11] op_sel_hi:[1,0]
	v_pk_add_f32 v[60:61], v[24:25], v[46:47] op_sel:[0,1] op_sel_hi:[1,0]
	v_pk_add_f32 v[24:25], v[24:25], v[46:47] op_sel:[0,1] op_sel_hi:[1,0] neg_lo:[0,1] neg_hi:[0,1]
	v_pk_add_f32 v[46:47], v[60:61], v[54:55] op_sel:[0,1] op_sel_hi:[1,0] neg_lo:[0,1] neg_hi:[0,1]
	v_pk_add_f32 v[24:25], v[24:25], v[54:55] op_sel:[0,1] op_sel_hi:[1,0]
	v_pk_add_f32 v[42:43], v[42:43], v[104:105] op_sel:[0,1] op_sel_hi:[1,0]
	v_mov_b32_e32 v54, v46
	v_mov_b32_e32 v55, v25
	;; [unrolled: 1-line block ×5, first 2 shown]
	v_pk_fma_f32 v[54:55], v[44:45], s[8:9], v[54:55] op_sel_hi:[1,0,1]
	v_pk_fma_f32 v[24:25], v[44:45], s[8:9], v[24:25] op_sel_hi:[1,0,1]
	v_mov_b32_e32 v43, v101
	v_pk_add_f32 v[44:45], v[64:65], v[66:67]
	v_pk_add_f32 v[46:47], v[62:63], v[68:69] neg_lo:[0,1] neg_hi:[0,1]
	v_pk_fma_f32 v[104:105], v[106:107], s[8:9], v[104:105] op_sel_hi:[1,0,1]
	v_pk_fma_f32 v[42:43], v[106:107], s[8:9], v[42:43] op_sel_hi:[1,0,1]
	v_pk_fma_f32 v[44:45], v[44:45], 0.5, v[26:27] op_sel_hi:[1,0,1] neg_lo:[1,0,0] neg_hi:[1,0,0]
	v_pk_mul_f32 v[60:61], v[46:47], s[0:1] op_sel_hi:[1,0]
	v_pk_add_f32 v[98:99], v[64:65], v[66:67] neg_lo:[0,1] neg_hi:[0,1]
	v_pk_add_f32 v[102:103], v[62:63], v[64:65] neg_lo:[0,1] neg_hi:[0,1]
	;; [unrolled: 1-line block ×3, first 2 shown]
	v_pk_mul_f32 v[100:101], v[98:99], s[10:11] op_sel_hi:[1,0]
	v_pk_add_f32 v[102:103], v[102:103], v[106:107]
	v_pk_add_f32 v[106:107], v[44:45], v[60:61] op_sel:[0,1] op_sel_hi:[1,0] neg_lo:[0,1] neg_hi:[0,1]
	v_pk_add_f32 v[44:45], v[44:45], v[60:61] op_sel:[0,1] op_sel_hi:[1,0]
	v_pk_add_f32 v[60:61], v[106:107], v[100:101] op_sel:[0,1] op_sel_hi:[1,0] neg_lo:[0,1] neg_hi:[0,1]
	v_pk_add_f32 v[44:45], v[44:45], v[100:101] op_sel:[0,1] op_sel_hi:[1,0]
	v_mov_b32_e32 v100, v60
	v_mov_b32_e32 v101, v45
	v_pk_fma_f32 v[100:101], v[102:103], s[8:9], v[100:101] op_sel_hi:[1,0,1]
	ds_write2_b64 v48, v[104:105], v[100:101] offset0:129 offset1:184
	v_pk_add_f32 v[100:101], v[62:63], v[68:69]
	v_pk_add_f32 v[62:63], v[64:65], v[62:63] neg_lo:[0,1] neg_hi:[0,1]
	v_pk_add_f32 v[64:65], v[66:67], v[68:69] neg_lo:[0,1] neg_hi:[0,1]
	v_pk_fma_f32 v[26:27], v[100:101], 0.5, v[26:27] op_sel_hi:[1,0,1] neg_lo:[1,0,0] neg_hi:[1,0,0]
	v_pk_add_f32 v[62:63], v[62:63], v[64:65]
	v_pk_mul_f32 v[64:65], v[98:99], s[0:1] op_sel_hi:[1,0]
	v_pk_mul_f32 v[46:47], v[46:47], s[10:11] op_sel_hi:[1,0]
	v_pk_add_f32 v[66:67], v[26:27], v[64:65] op_sel:[0,1] op_sel_hi:[1,0]
	v_pk_add_f32 v[26:27], v[26:27], v[64:65] op_sel:[0,1] op_sel_hi:[1,0] neg_lo:[0,1] neg_hi:[0,1]
	v_mov_b32_e32 v45, v61
	v_pk_add_f32 v[26:27], v[26:27], v[46:47] op_sel:[0,1] op_sel_hi:[1,0]
	v_pk_add_f32 v[46:47], v[66:67], v[46:47] op_sel:[0,1] op_sel_hi:[1,0] neg_lo:[0,1] neg_hi:[0,1]
	v_mov_b32_e32 v65, v27
	v_mov_b32_e32 v27, v47
	v_pk_fma_f32 v[26:27], v[62:63], s[8:9], v[26:27] op_sel_hi:[1,0,1]
	v_mov_b32_e32 v64, v46
	ds_write2_b64 v56, v[24:25], v[26:27] offset0:131 offset1:186
	v_pk_fma_f32 v[24:25], v[102:103], s[8:9], v[44:45] op_sel_hi:[1,0,1]
	v_pk_fma_f32 v[64:65], v[62:63], s[8:9], v[64:65] op_sel_hi:[1,0,1]
	ds_write2_b64 v37, v[42:43], v[24:25] offset0:4 offset1:59
	v_pk_add_f32 v[24:25], v[72:73], v[74:75]
	v_pk_add_f32 v[26:27], v[70:71], v[76:77] neg_lo:[0,1] neg_hi:[0,1]
	ds_write2_b64 v50, v[54:55], v[64:65] offset0:2 offset1:57
	v_pk_fma_f32 v[24:25], v[24:25], 0.5, v[6:7] op_sel_hi:[1,0,1] neg_lo:[1,0,0] neg_hi:[1,0,0]
	v_pk_mul_f32 v[42:43], v[26:27], s[0:1] op_sel_hi:[1,0]
	v_pk_add_f32 v[44:45], v[72:73], v[74:75] neg_lo:[0,1] neg_hi:[0,1]
	v_pk_add_f32 v[54:55], v[70:71], v[72:73] neg_lo:[0,1] neg_hi:[0,1]
	;; [unrolled: 1-line block ×3, first 2 shown]
	v_pk_mul_f32 v[46:47], v[44:45], s[10:11] op_sel_hi:[1,0]
	v_pk_add_f32 v[54:55], v[54:55], v[60:61]
	v_pk_add_f32 v[60:61], v[24:25], v[42:43] op_sel:[0,1] op_sel_hi:[1,0] neg_lo:[0,1] neg_hi:[0,1]
	v_pk_add_f32 v[24:25], v[24:25], v[42:43] op_sel:[0,1] op_sel_hi:[1,0]
	v_pk_add_f32 v[42:43], v[60:61], v[46:47] op_sel:[0,1] op_sel_hi:[1,0] neg_lo:[0,1] neg_hi:[0,1]
	v_pk_add_f32 v[60:61], v[70:71], v[76:77]
	v_pk_add_f32 v[62:63], v[74:75], v[76:77] neg_lo:[0,1] neg_hi:[0,1]
	v_pk_fma_f32 v[6:7], v[60:61], 0.5, v[6:7] op_sel_hi:[1,0,1] neg_lo:[1,0,0] neg_hi:[1,0,0]
	v_pk_add_f32 v[60:61], v[72:73], v[70:71] neg_lo:[0,1] neg_hi:[0,1]
	v_pk_mul_f32 v[44:45], v[44:45], s[0:1] op_sel_hi:[1,0]
	v_pk_add_f32 v[60:61], v[60:61], v[62:63]
	v_pk_mul_f32 v[26:27], v[26:27], s[10:11] op_sel_hi:[1,0]
	v_pk_add_f32 v[62:63], v[6:7], v[44:45] op_sel:[0,1] op_sel_hi:[1,0]
	v_pk_add_f32 v[6:7], v[6:7], v[44:45] op_sel:[0,1] op_sel_hi:[1,0] neg_lo:[0,1] neg_hi:[0,1]
	v_pk_add_f32 v[24:25], v[24:25], v[46:47] op_sel:[0,1] op_sel_hi:[1,0]
	v_pk_add_f32 v[6:7], v[6:7], v[26:27] op_sel:[0,1] op_sel_hi:[1,0]
	v_pk_add_f32 v[26:27], v[62:63], v[26:27] op_sel:[0,1] op_sel_hi:[1,0] neg_lo:[0,1] neg_hi:[0,1]
	v_mov_b32_e32 v46, v42
	v_mov_b32_e32 v47, v25
	;; [unrolled: 1-line block ×6, first 2 shown]
	v_pk_add_f32 v[26:27], v[82:83], v[84:85]
	v_pk_add_f32 v[42:43], v[80:81], v[86:87] neg_lo:[0,1] neg_hi:[0,1]
	v_pk_fma_f32 v[46:47], v[54:55], s[8:9], v[46:47] op_sel_hi:[1,0,1]
	v_pk_fma_f32 v[44:45], v[60:61], s[8:9], v[44:45] op_sel_hi:[1,0,1]
	;; [unrolled: 1-line block ×4, first 2 shown]
	v_pk_fma_f32 v[26:27], v[26:27], 0.5, v[8:9] op_sel_hi:[1,0,1] neg_lo:[1,0,0] neg_hi:[1,0,0]
	v_pk_mul_f32 v[54:55], v[42:43], s[0:1] op_sel_hi:[1,0]
	v_pk_add_f32 v[60:61], v[82:83], v[84:85] neg_lo:[0,1] neg_hi:[0,1]
	v_pk_add_f32 v[64:65], v[80:81], v[82:83] neg_lo:[0,1] neg_hi:[0,1]
	;; [unrolled: 1-line block ×3, first 2 shown]
	v_pk_mul_f32 v[62:63], v[60:61], s[10:11] op_sel_hi:[1,0]
	v_pk_add_f32 v[64:65], v[64:65], v[66:67]
	v_pk_add_f32 v[66:67], v[26:27], v[54:55] op_sel:[0,1] op_sel_hi:[1,0] neg_lo:[0,1] neg_hi:[0,1]
	v_pk_add_f32 v[26:27], v[26:27], v[54:55] op_sel:[0,1] op_sel_hi:[1,0]
	v_pk_add_f32 v[54:55], v[66:67], v[62:63] op_sel:[0,1] op_sel_hi:[1,0] neg_lo:[0,1] neg_hi:[0,1]
	v_pk_add_f32 v[26:27], v[26:27], v[62:63] op_sel:[0,1] op_sel_hi:[1,0]
	v_mov_b32_e32 v62, v54
	v_mov_b32_e32 v63, v27
	v_pk_fma_f32 v[62:63], v[64:65], s[8:9], v[62:63] op_sel_hi:[1,0,1]
	v_add_u32_e32 v27, 0xc00, v36
	ds_write2_b64 v27, v[46:47], v[62:63] offset0:111 offset1:166
	v_pk_add_f32 v[46:47], v[80:81], v[86:87]
	v_pk_add_f32 v[62:63], v[84:85], v[86:87] neg_lo:[0,1] neg_hi:[0,1]
	v_pk_fma_f32 v[8:9], v[46:47], 0.5, v[8:9] op_sel_hi:[1,0,1] neg_lo:[1,0,0] neg_hi:[1,0,0]
	v_pk_add_f32 v[46:47], v[82:83], v[80:81] neg_lo:[0,1] neg_hi:[0,1]
	v_pk_mul_f32 v[60:61], v[60:61], s[0:1] op_sel_hi:[1,0]
	v_pk_add_f32 v[46:47], v[46:47], v[62:63]
	v_pk_mul_f32 v[42:43], v[42:43], s[10:11] op_sel_hi:[1,0]
	v_pk_add_f32 v[62:63], v[8:9], v[60:61] op_sel:[0,1] op_sel_hi:[1,0]
	v_pk_add_f32 v[8:9], v[8:9], v[60:61] op_sel:[0,1] op_sel_hi:[1,0] neg_lo:[0,1] neg_hi:[0,1]
	v_add_u32_e32 v27, 0x2400, v36
	v_pk_add_f32 v[8:9], v[8:9], v[42:43] op_sel:[0,1] op_sel_hi:[1,0]
	v_pk_add_f32 v[42:43], v[62:63], v[42:43] op_sel:[0,1] op_sel_hi:[1,0] neg_lo:[0,1] neg_hi:[0,1]
	v_mov_b32_e32 v61, v9
	v_mov_b32_e32 v9, v43
	v_pk_fma_f32 v[8:9], v[46:47], s[8:9], v[8:9] op_sel_hi:[1,0,1]
	ds_write2_b64 v27, v[6:7], v[8:9] offset0:113 offset1:168
	v_mov_b32_e32 v27, v55
	v_mov_b32_e32 v60, v42
	v_pk_fma_f32 v[6:7], v[64:65], s[8:9], v[26:27] op_sel_hi:[1,0,1]
	v_pk_fma_f32 v[60:61], v[46:47], s[8:9], v[60:61] op_sel_hi:[1,0,1]
	ds_write2_b64 v37, v[24:25], v[6:7] offset0:114 offset1:169
	v_pk_add_f32 v[6:7], v[92:93], v[94:95]
	v_pk_add_f32 v[8:9], v[88:89], v[96:97] neg_lo:[0,1] neg_hi:[0,1]
	ds_write2_b64 v50, v[44:45], v[60:61] offset0:112 offset1:167
	v_pk_fma_f32 v[6:7], v[6:7], 0.5, v[2:3] op_sel_hi:[1,0,1] neg_lo:[1,0,0] neg_hi:[1,0,0]
	v_pk_mul_f32 v[24:25], v[8:9], s[0:1] op_sel_hi:[1,0]
	v_pk_add_f32 v[26:27], v[92:93], v[94:95] neg_lo:[0,1] neg_hi:[0,1]
	v_pk_add_f32 v[44:45], v[88:89], v[92:93] neg_lo:[0,1] neg_hi:[0,1]
	;; [unrolled: 1-line block ×3, first 2 shown]
	v_pk_mul_f32 v[42:43], v[26:27], s[10:11] op_sel_hi:[1,0]
	v_pk_add_f32 v[44:45], v[44:45], v[46:47]
	v_pk_add_f32 v[46:47], v[6:7], v[24:25] op_sel:[0,1] op_sel_hi:[1,0] neg_lo:[0,1] neg_hi:[0,1]
	v_pk_add_f32 v[6:7], v[6:7], v[24:25] op_sel:[0,1] op_sel_hi:[1,0]
	v_pk_add_f32 v[24:25], v[46:47], v[42:43] op_sel:[0,1] op_sel_hi:[1,0] neg_lo:[0,1] neg_hi:[0,1]
	v_pk_add_f32 v[46:47], v[88:89], v[96:97]
	v_pk_add_f32 v[54:55], v[94:95], v[96:97] neg_lo:[0,1] neg_hi:[0,1]
	v_pk_fma_f32 v[2:3], v[46:47], 0.5, v[2:3] op_sel_hi:[1,0,1] neg_lo:[1,0,0] neg_hi:[1,0,0]
	v_pk_add_f32 v[46:47], v[92:93], v[88:89] neg_lo:[0,1] neg_hi:[0,1]
	v_pk_mul_f32 v[26:27], v[26:27], s[0:1] op_sel_hi:[1,0]
	v_pk_add_f32 v[46:47], v[46:47], v[54:55]
	v_pk_mul_f32 v[8:9], v[8:9], s[10:11] op_sel_hi:[1,0]
	v_pk_add_f32 v[54:55], v[2:3], v[26:27] op_sel:[0,1] op_sel_hi:[1,0]
	v_pk_add_f32 v[2:3], v[2:3], v[26:27] op_sel:[0,1] op_sel_hi:[1,0] neg_lo:[0,1] neg_hi:[0,1]
	v_pk_add_f32 v[6:7], v[6:7], v[42:43] op_sel:[0,1] op_sel_hi:[1,0]
	v_pk_add_f32 v[2:3], v[2:3], v[8:9] op_sel:[0,1] op_sel_hi:[1,0]
	v_pk_add_f32 v[8:9], v[54:55], v[8:9] op_sel:[0,1] op_sel_hi:[1,0] neg_lo:[0,1] neg_hi:[0,1]
	v_mov_b32_e32 v27, v3
	v_mov_b32_e32 v3, v9
	;; [unrolled: 1-line block ×4, first 2 shown]
	v_pk_fma_f32 v[2:3], v[46:47], s[8:9], v[2:3] op_sel_hi:[1,0,1]
	v_mov_b32_e32 v7, v25
	v_pk_fma_f32 v[26:27], v[46:47], s[8:9], v[26:27] op_sel_hi:[1,0,1]
	ds_write_b64 v36, v[2:3] offset:11000
	v_pk_fma_f32 v[2:3], v[44:45], s[8:9], v[6:7] op_sel_hi:[1,0,1]
	ds_write_b64 v36, v[26:27] offset:7920
	ds_write_b64 v36, v[2:3] offset:14080
	ds_write2_b64 v52, v[28:29], v[30:31] offset0:92 offset1:147
	v_pk_add_f32 v[2:3], v[32:33], v[78:79]
	v_pk_add_f32 v[6:7], v[22:23], v[40:41] neg_lo:[0,1] neg_hi:[0,1]
	v_mov_b32_e32 v42, v24
	v_pk_fma_f32 v[2:3], v[2:3], 0.5, v[4:5] op_sel_hi:[1,0,1] neg_lo:[1,0,0] neg_hi:[1,0,0]
	v_pk_mul_f32 v[8:9], v[6:7], s[0:1] op_sel_hi:[1,0]
	v_pk_add_f32 v[24:25], v[32:33], v[78:79] neg_lo:[0,1] neg_hi:[0,1]
	v_pk_add_f32 v[28:29], v[22:23], v[32:33] neg_lo:[0,1] neg_hi:[0,1]
	v_pk_add_f32 v[30:31], v[40:41], v[78:79] neg_lo:[0,1] neg_hi:[0,1]
	v_pk_mul_f32 v[26:27], v[24:25], s[10:11] op_sel_hi:[1,0]
	v_pk_add_f32 v[28:29], v[28:29], v[30:31]
	v_pk_add_f32 v[30:31], v[2:3], v[8:9] op_sel:[0,1] op_sel_hi:[1,0] neg_lo:[0,1] neg_hi:[0,1]
	v_pk_add_f32 v[2:3], v[2:3], v[8:9] op_sel:[0,1] op_sel_hi:[1,0]
	v_pk_add_f32 v[8:9], v[30:31], v[26:27] op_sel:[0,1] op_sel_hi:[1,0] neg_lo:[0,1] neg_hi:[0,1]
	v_pk_add_f32 v[2:3], v[2:3], v[26:27] op_sel:[0,1] op_sel_hi:[1,0]
	v_mov_b32_e32 v26, v8
	v_mov_b32_e32 v27, v3
	v_pk_fma_f32 v[42:43], v[44:45], s[8:9], v[42:43] op_sel_hi:[1,0,1]
	v_pk_fma_f32 v[26:27], v[28:29], s[8:9], v[26:27] op_sel_hi:[1,0,1]
	ds_write2_b64 v58, v[42:43], v[26:27] offset0:93 offset1:148
	v_pk_add_f32 v[26:27], v[22:23], v[40:41]
	v_pk_add_f32 v[22:23], v[32:33], v[22:23] neg_lo:[0,1] neg_hi:[0,1]
	v_pk_fma_f32 v[4:5], v[26:27], 0.5, v[4:5] op_sel_hi:[1,0,1] neg_lo:[1,0,0] neg_hi:[1,0,0]
	v_pk_add_f32 v[26:27], v[78:79], v[40:41] neg_lo:[0,1] neg_hi:[0,1]
	v_pk_mul_f32 v[24:25], v[24:25], s[0:1] op_sel_hi:[1,0]
	v_pk_add_f32 v[22:23], v[22:23], v[26:27]
	v_pk_mul_f32 v[6:7], v[6:7], s[10:11] op_sel_hi:[1,0]
	v_pk_add_f32 v[26:27], v[4:5], v[24:25] op_sel:[0,1] op_sel_hi:[1,0]
	v_pk_add_f32 v[4:5], v[4:5], v[24:25] op_sel:[0,1] op_sel_hi:[1,0] neg_lo:[0,1] neg_hi:[0,1]
	v_pk_add_f32 v[34:35], v[34:35], v[16:17]
	v_pk_add_f32 v[4:5], v[4:5], v[6:7] op_sel:[0,1] op_sel_hi:[1,0]
	v_pk_add_f32 v[6:7], v[26:27], v[6:7] op_sel:[0,1] op_sel_hi:[1,0] neg_lo:[0,1] neg_hi:[0,1]
	v_mov_b32_e32 v25, v5
	v_mov_b32_e32 v5, v7
	;; [unrolled: 1-line block ×3, first 2 shown]
	v_pk_add_f32 v[34:35], v[34:35], v[18:19]
	v_pk_fma_f32 v[4:5], v[22:23], s[8:9], v[4:5] op_sel_hi:[1,0,1]
	v_pk_fma_f32 v[2:3], v[28:29], s[8:9], v[2:3] op_sel_hi:[1,0,1]
	v_pk_add_f32 v[34:35], v[34:35], v[20:21]
	ds_write_b64 v36, v[4:5] offset:11440
	ds_write_b64 v36, v[2:3] offset:14520
	;; [unrolled: 1-line block ×3, first 2 shown]
	v_pk_add_f32 v[2:3], v[16:17], v[18:19]
	v_pk_add_f32 v[4:5], v[14:15], v[20:21] neg_lo:[0,1] neg_hi:[0,1]
	v_mov_b32_e32 v24, v6
	v_pk_fma_f32 v[2:3], v[2:3], 0.5, v[0:1] op_sel_hi:[1,0,1] neg_lo:[1,0,0] neg_hi:[1,0,0]
	v_pk_mul_f32 v[6:7], v[4:5], s[0:1] op_sel_hi:[1,0]
	v_pk_add_f32 v[8:9], v[16:17], v[18:19] neg_lo:[0,1] neg_hi:[0,1]
	v_pk_add_f32 v[26:27], v[14:15], v[16:17] neg_lo:[0,1] neg_hi:[0,1]
	;; [unrolled: 1-line block ×3, first 2 shown]
	v_pk_fma_f32 v[24:25], v[22:23], s[8:9], v[24:25] op_sel_hi:[1,0,1]
	v_pk_mul_f32 v[22:23], v[8:9], s[10:11] op_sel_hi:[1,0]
	v_pk_add_f32 v[26:27], v[26:27], v[28:29]
	v_pk_add_f32 v[28:29], v[2:3], v[6:7] op_sel:[0,1] op_sel_hi:[1,0] neg_lo:[0,1] neg_hi:[0,1]
	v_pk_add_f32 v[2:3], v[2:3], v[6:7] op_sel:[0,1] op_sel_hi:[1,0]
	v_pk_add_f32 v[6:7], v[28:29], v[22:23] op_sel:[0,1] op_sel_hi:[1,0] neg_lo:[0,1] neg_hi:[0,1]
	v_pk_add_f32 v[2:3], v[2:3], v[22:23] op_sel:[0,1] op_sel_hi:[1,0]
	v_mov_b32_e32 v22, v6
	v_mov_b32_e32 v23, v3
	v_pk_fma_f32 v[22:23], v[26:27], s[8:9], v[22:23] op_sel_hi:[1,0,1]
	ds_write_b64 v36, v[22:23] offset:5720
	v_pk_add_f32 v[22:23], v[14:15], v[20:21]
	v_pk_add_f32 v[14:15], v[16:17], v[14:15] neg_lo:[0,1] neg_hi:[0,1]
	v_pk_fma_f32 v[0:1], v[22:23], 0.5, v[0:1] op_sel_hi:[1,0,1] neg_lo:[1,0,0] neg_hi:[1,0,0]
	v_pk_add_f32 v[16:17], v[18:19], v[20:21] neg_lo:[0,1] neg_hi:[0,1]
	v_pk_mul_f32 v[8:9], v[8:9], s[0:1] op_sel_hi:[1,0]
	v_pk_add_f32 v[14:15], v[14:15], v[16:17]
	v_pk_mul_f32 v[4:5], v[4:5], s[10:11] op_sel_hi:[1,0]
	v_pk_add_f32 v[16:17], v[0:1], v[8:9] op_sel:[0,1] op_sel_hi:[1,0]
	v_pk_add_f32 v[0:1], v[0:1], v[8:9] op_sel:[0,1] op_sel_hi:[1,0] neg_lo:[0,1] neg_hi:[0,1]
	v_mov_b32_e32 v3, v7
	v_pk_add_f32 v[0:1], v[0:1], v[4:5] op_sel:[0,1] op_sel_hi:[1,0]
	v_pk_add_f32 v[4:5], v[16:17], v[4:5] op_sel:[0,1] op_sel_hi:[1,0] neg_lo:[0,1] neg_hi:[0,1]
	v_mov_b32_e32 v9, v1
	v_mov_b32_e32 v8, v4
	;; [unrolled: 1-line block ×3, first 2 shown]
	v_pk_fma_f32 v[8:9], v[14:15], s[8:9], v[8:9] op_sel_hi:[1,0,1]
	v_pk_fma_f32 v[0:1], v[14:15], s[8:9], v[0:1] op_sel_hi:[1,0,1]
	ds_write2_b64 v56, v[24:25], v[8:9] offset0:21 offset1:76
	ds_write_b64 v36, v[0:1] offset:11880
	v_pk_fma_f32 v[0:1], v[26:27], s[8:9], v[2:3] op_sel_hi:[1,0,1]
	ds_write_b64 v36, v[0:1] offset:14960
	s_waitcnt lgkmcnt(0)
	; wave barrier
	s_waitcnt lgkmcnt(0)
	ds_read2_b64 v[14:17], v36 offset1:55
	v_mov_b32_e32 v0, v13
	v_mad_u64_u32 v[0:1], s[0:1], s7, v110, v[0:1]
	v_accvgpr_read_b32 v3, a63              ;  Reload Reuse
	v_mov_b32_e32 v13, v0
	v_accvgpr_read_b32 v2, a65              ;  Reload Reuse
	s_waitcnt lgkmcnt(0)
	v_mul_f32_e32 v0, v3, v15
	v_fmac_f32_e32 v0, v2, v14
	s_mov_b32 s0, 0xebc93598
	v_cvt_f64_f32_e32 v[0:1], v0
	s_mov_b32 s1, 0x3f4105b7
	v_mul_f64 v[0:1], v[0:1], s[0:1]
	v_cvt_f32_f64_e32 v4, v[0:1]
	v_mul_f32_e32 v0, v3, v14
	v_fma_f32 v0, v2, v15, -v0
	v_cvt_f64_f32_e32 v[0:1], v0
	v_mul_f64 v[0:1], v[0:1], s[0:1]
	v_cvt_f32_f64_e32 v5, v[0:1]
	v_accvgpr_read_b32 v1, a59              ;  Reload Reuse
	v_accvgpr_read_b32 v0, a61              ;  Reload Reuse
	v_mov_b32_e32 v2, v0
	v_mad_u64_u32 v[6:7], s[2:3], s4, v2, 0
	v_mov_b32_e32 v0, v7
	v_mad_u64_u32 v[8:9], s[2:3], s5, v2, v[0:1]
	ds_read2_b64 v[0:3], v52 offset0:92 offset1:147
	v_mov_b32_e32 v7, v8
	v_lshl_add_u64 v[8:9], v[12:13], 3, v[10:11]
	v_lshl_add_u64 v[6:7], v[6:7], 3, v[8:9]
	v_accvgpr_read_b32 v9, a67              ;  Reload Reuse
	global_store_dwordx2 v[6:7], v[4:5], off
	v_accvgpr_read_b32 v8, a69              ;  Reload Reuse
	s_waitcnt lgkmcnt(0)
	v_mul_f32_e32 v4, v9, v3
	v_fmac_f32_e32 v4, v8, v2
	v_mul_f32_e32 v2, v9, v2
	v_fma_f32 v2, v8, v3, -v2
	v_mov_b32_e32 v8, 0x898
	ds_read2_b64 v[10:13], v58 offset0:38 offset1:93
	v_cvt_f64_f32_e32 v[4:5], v4
	v_cvt_f64_f32_e32 v[2:3], v2
	v_mad_u64_u32 v[6:7], s[2:3], s4, v8, v[6:7]
	v_mul_f64 v[4:5], v[4:5], s[0:1]
	v_mul_f64 v[2:3], v[2:3], s[0:1]
	s_mul_i32 s2, s5, 0x898
	v_cvt_f32_f64_e32 v4, v[4:5]
	v_cvt_f32_f64_e32 v5, v[2:3]
	v_add_u32_e32 v7, s2, v7
	global_store_dwordx2 v[6:7], v[4:5], off
	v_accvgpr_read_b32 v5, a71              ;  Reload Reuse
	v_accvgpr_read_b32 v4, a89              ;  Reload Reuse
	s_waitcnt lgkmcnt(0)
	v_mul_f32_e32 v2, v5, v11
	v_fmac_f32_e32 v2, v4, v10
	v_cvt_f64_f32_e32 v[2:3], v2
	v_mul_f64 v[2:3], v[2:3], s[0:1]
	v_cvt_f32_f64_e32 v14, v[2:3]
	v_mul_f32_e32 v2, v5, v10
	v_fma_f32 v2, v4, v11, -v2
	v_cvt_f64_f32_e32 v[2:3], v2
	v_mul_f64 v[2:3], v[2:3], s[0:1]
	v_cvt_f32_f64_e32 v15, v[2:3]
	ds_read2_b64 v[2:5], v50 offset0:2 offset1:57
	v_mad_u64_u32 v[6:7], s[6:7], s4, v8, v[6:7]
	v_add_u32_e32 v7, s2, v7
	global_store_dwordx2 v[6:7], v[14:15], off
	v_accvgpr_read_b32 v15, a143            ;  Reload Reuse
	v_accvgpr_read_b32 v14, a145            ;  Reload Reuse
	s_waitcnt lgkmcnt(0)
	v_mul_f32_e32 v9, v15, v5
	ds_read2_b64 v[18:21], v56 offset0:76 offset1:131
	v_fmac_f32_e32 v9, v14, v4
	v_mul_f32_e32 v4, v15, v4
	v_fma_f32 v4, v14, v5, -v4
	v_cvt_f64_f32_e32 v[10:11], v9
	v_cvt_f64_f32_e32 v[4:5], v4
	v_mul_f64 v[10:11], v[10:11], s[0:1]
	v_mul_f64 v[4:5], v[4:5], s[0:1]
	v_mad_u64_u32 v[14:15], s[6:7], s4, v8, v[6:7]
	v_accvgpr_read_b32 v7, a147             ;  Reload Reuse
	v_cvt_f32_f64_e32 v10, v[10:11]
	v_cvt_f32_f64_e32 v11, v[4:5]
	v_accvgpr_read_b32 v6, a155             ;  Reload Reuse
	s_waitcnt lgkmcnt(0)
	v_mul_f32_e32 v4, v7, v19
	v_fmac_f32_e32 v4, v6, v18
	v_cvt_f64_f32_e32 v[4:5], v4
	v_add_u32_e32 v15, s2, v15
	v_mul_f64 v[4:5], v[4:5], s[0:1]
	global_store_dwordx2 v[14:15], v[10:11], off
	v_cvt_f32_f64_e32 v10, v[4:5]
	v_mul_f32_e32 v4, v7, v18
	v_fma_f32 v4, v6, v19, -v4
	v_cvt_f64_f32_e32 v[4:5], v4
	v_mul_f64 v[4:5], v[4:5], s[0:1]
	v_cvt_f32_f64_e32 v11, v[4:5]
	ds_read2_b64 v[4:7], v91 offset0:40 offset1:95
	v_accvgpr_read_b32 v19, a157            ;  Reload Reuse
	v_accvgpr_read_b32 v18, a159            ;  Reload Reuse
	v_mad_u64_u32 v[14:15], s[6:7], s4, v8, v[14:15]
	s_waitcnt lgkmcnt(0)
	v_mul_f32_e32 v9, v19, v7
	v_fmac_f32_e32 v9, v18, v6
	v_mul_f32_e32 v6, v19, v6
	ds_read2_b64 v[22:25], v37 offset0:114 offset1:169
	v_add_u32_e32 v15, s2, v15
	v_fma_f32 v6, v18, v7, -v6
	global_store_dwordx2 v[14:15], v[10:11], off
	v_cvt_f64_f32_e32 v[10:11], v9
	v_cvt_f64_f32_e32 v[6:7], v6
	v_mul_f64 v[10:11], v[10:11], s[0:1]
	v_mul_f64 v[6:7], v[6:7], s[0:1]
	v_cvt_f32_f64_e32 v10, v[10:11]
	v_cvt_f32_f64_e32 v11, v[6:7]
	v_mad_u64_u32 v[6:7], s[6:7], s4, v8, v[14:15]
	v_accvgpr_read_b32 v15, a161            ;  Reload Reuse
	v_accvgpr_read_b32 v14, a163            ;  Reload Reuse
	s_waitcnt lgkmcnt(0)
	v_mul_f32_e32 v9, v15, v23
	v_add_u32_e32 v7, s2, v7
	v_fmac_f32_e32 v9, v14, v22
	global_store_dwordx2 v[6:7], v[10:11], off
	v_cvt_f64_f32_e32 v[10:11], v9
	v_mul_f32_e32 v9, v15, v22
	v_fma_f32 v9, v14, v23, -v9
	v_cvt_f64_f32_e32 v[14:15], v9
	v_mul_f64 v[10:11], v[10:11], s[0:1]
	v_mul_f64 v[14:15], v[14:15], s[0:1]
	v_cvt_f32_f64_e32 v10, v[10:11]
	v_cvt_f32_f64_e32 v11, v[14:15]
	v_accvgpr_read_b32 v15, a165            ;  Reload Reuse
	v_mad_u64_u32 v[6:7], s[6:7], s4, v8, v[6:7]
	v_accvgpr_read_b32 v14, a167            ;  Reload Reuse
	v_mul_f32_e32 v9, v15, v17
	v_add_u32_e32 v7, s2, v7
	v_fmac_f32_e32 v9, v14, v16
	global_store_dwordx2 v[6:7], v[10:11], off
	v_cvt_f64_f32_e32 v[10:11], v9
	v_mul_f32_e32 v9, v15, v16
	v_fma_f32 v9, v14, v17, -v9
	v_cvt_f64_f32_e32 v[14:15], v9
	v_mul_f64 v[10:11], v[10:11], s[0:1]
	v_mul_f64 v[14:15], v[14:15], s[0:1]
	v_cvt_f32_f64_e32 v10, v[10:11]
	v_cvt_f32_f64_e32 v11, v[14:15]
	ds_read2_b64 v[14:17], v48 offset0:74 offset1:129
	v_mov_b32_e32 v9, 0xffffce28
	s_mul_i32 s3, s5, 0xffffce28
	v_mad_u64_u32 v[6:7], s[6:7], s4, v9, v[6:7]
	s_sub_i32 s3, s3, s4
	v_add_u32_e32 v7, s3, v7
	v_accvgpr_read_b32 v19, a169            ;  Reload Reuse
	global_store_dwordx2 v[6:7], v[10:11], off
	v_accvgpr_read_b32 v18, a171            ;  Reload Reuse
	s_waitcnt lgkmcnt(0)
	v_mul_f32_e32 v10, v19, v15
	v_fmac_f32_e32 v10, v18, v14
	v_cvt_f64_f32_e32 v[10:11], v10
	v_mul_f64 v[10:11], v[10:11], s[0:1]
	v_cvt_f32_f64_e32 v10, v[10:11]
	v_mul_f32_e32 v11, v19, v14
	v_fma_f32 v11, v18, v15, -v11
	v_cvt_f64_f32_e32 v[14:15], v11
	v_mul_f64 v[14:15], v[14:15], s[0:1]
	v_mad_u64_u32 v[6:7], s[6:7], s4, v8, v[6:7]
	v_cvt_f32_f64_e32 v11, v[14:15]
	v_add_u32_e32 v7, s2, v7
	v_accvgpr_read_b32 v19, a173            ;  Reload Reuse
	global_store_dwordx2 v[6:7], v[10:11], off
	v_accvgpr_read_b32 v18, a191            ;  Reload Reuse
	v_mul_f32_e32 v10, v19, v13
	v_fmac_f32_e32 v10, v18, v12
	v_cvt_f64_f32_e32 v[10:11], v10
	v_mul_f64 v[10:11], v[10:11], s[0:1]
	v_cvt_f32_f64_e32 v14, v[10:11]
	v_mul_f32_e32 v10, v19, v12
	v_fma_f32 v10, v18, v13, -v10
	v_cvt_f64_f32_e32 v[10:11], v10
	v_mul_f64 v[10:11], v[10:11], s[0:1]
	v_cvt_f32_f64_e32 v15, v[10:11]
	ds_read2_b64 v[10:13], v50 offset0:112 offset1:167
	v_mad_u64_u32 v[6:7], s[6:7], s4, v8, v[6:7]
	v_add_u32_e32 v7, s2, v7
	v_accvgpr_read_b32 v19, a193            ;  Reload Reuse
	global_store_dwordx2 v[6:7], v[14:15], off
	v_accvgpr_read_b32 v18, a199            ;  Reload Reuse
	s_waitcnt lgkmcnt(0)
	v_mul_f32_e32 v14, v19, v11
	v_fmac_f32_e32 v14, v18, v10
	v_mul_f32_e32 v10, v19, v10
	v_fma_f32 v10, v18, v11, -v10
	v_cvt_f64_f32_e32 v[14:15], v14
	v_cvt_f64_f32_e32 v[10:11], v10
	v_mul_f64 v[14:15], v[14:15], s[0:1]
	v_mul_f64 v[10:11], v[10:11], s[0:1]
	v_mad_u64_u32 v[6:7], s[6:7], s4, v8, v[6:7]
	v_cvt_f32_f64_e32 v14, v[14:15]
	v_cvt_f32_f64_e32 v15, v[10:11]
	v_add_u32_e32 v7, s2, v7
	global_store_dwordx2 v[6:7], v[14:15], off
	v_accvgpr_read_b32 v15, a203            ;  Reload Reuse
	v_accvgpr_read_b32 v14, a209            ;  Reload Reuse
	v_mul_f32_e32 v10, v15, v21
	v_fmac_f32_e32 v10, v14, v20
	v_cvt_f64_f32_e32 v[10:11], v10
	v_mul_f64 v[10:11], v[10:11], s[0:1]
	v_cvt_f32_f64_e32 v10, v[10:11]
	v_mul_f32_e32 v11, v15, v20
	v_fma_f32 v11, v14, v21, -v11
	ds_read2_b64 v[18:21], v91 offset0:150 offset1:205
	v_cvt_f64_f32_e32 v[14:15], v11
	v_mul_f64 v[14:15], v[14:15], s[0:1]
	v_mad_u64_u32 v[6:7], s[6:7], s4, v8, v[6:7]
	v_cvt_f32_f64_e32 v11, v[14:15]
	v_add_u32_e32 v7, s2, v7
	v_accvgpr_read_b32 v15, a211            ;  Reload Reuse
	global_store_dwordx2 v[6:7], v[10:11], off
	v_accvgpr_read_b32 v14, a215            ;  Reload Reuse
	s_waitcnt lgkmcnt(0)
	v_mul_f32_e32 v10, v15, v19
	v_fmac_f32_e32 v10, v14, v18
	v_cvt_f64_f32_e32 v[10:11], v10
	v_mul_f64 v[10:11], v[10:11], s[0:1]
	v_cvt_f32_f64_e32 v10, v[10:11]
	v_mul_f32_e32 v11, v15, v18
	v_fma_f32 v11, v14, v19, -v11
	scratch_load_dwordx2 v[18:19], off, off offset:112 ; 8-byte Folded Reload
	v_cvt_f64_f32_e32 v[14:15], v11
	v_mul_f64 v[14:15], v[14:15], s[0:1]
	v_mad_u64_u32 v[6:7], s[6:7], s4, v8, v[6:7]
	v_cvt_f32_f64_e32 v11, v[14:15]
	v_add_u32_e32 v7, s2, v7
	v_accvgpr_read_b32 v15, a219            ;  Reload Reuse
	global_store_dwordx2 v[6:7], v[10:11], off
	v_accvgpr_read_b32 v14, a221            ;  Reload Reuse
	v_mul_f32_e32 v10, v15, v25
	v_fmac_f32_e32 v10, v14, v24
	v_cvt_f64_f32_e32 v[10:11], v10
	v_mul_f64 v[10:11], v[10:11], s[0:1]
	v_cvt_f32_f64_e32 v10, v[10:11]
	v_mul_f32_e32 v11, v15, v24
	v_fma_f32 v11, v14, v25, -v11
	ds_read2_b64 v[22:25], v36 offset0:110 offset1:165
	v_cvt_f64_f32_e32 v[14:15], v11
	v_mul_f64 v[14:15], v[14:15], s[0:1]
	v_mad_u64_u32 v[6:7], s[6:7], s4, v8, v[6:7]
	v_cvt_f32_f64_e32 v11, v[14:15]
	v_add_u32_e32 v7, s2, v7
	v_accvgpr_read_b32 v15, a223            ;  Reload Reuse
	global_store_dwordx2 v[6:7], v[10:11], off
	v_accvgpr_read_b32 v14, a229            ;  Reload Reuse
	s_waitcnt lgkmcnt(0)
	v_mul_f32_e32 v10, v15, v23
	v_fmac_f32_e32 v10, v14, v22
	v_cvt_f64_f32_e32 v[10:11], v10
	v_mul_f64 v[10:11], v[10:11], s[0:1]
	v_cvt_f32_f64_e32 v10, v[10:11]
	v_mul_f32_e32 v11, v15, v22
	v_fma_f32 v11, v14, v23, -v11
	v_cvt_f64_f32_e32 v[14:15], v11
	v_mul_f64 v[14:15], v[14:15], s[0:1]
	v_mad_u64_u32 v[6:7], s[6:7], s4, v9, v[6:7]
	v_cvt_f32_f64_e32 v11, v[14:15]
	v_add_u32_e32 v7, s3, v7
	v_accvgpr_read_b32 v15, a237            ;  Reload Reuse
	global_store_dwordx2 v[6:7], v[10:11], off
	v_accvgpr_read_b32 v14, a253            ;  Reload Reuse
	v_mul_f32_e32 v10, v15, v17
	v_fmac_f32_e32 v10, v14, v16
	v_cvt_f64_f32_e32 v[10:11], v10
	v_mul_f64 v[10:11], v[10:11], s[0:1]
	v_cvt_f32_f64_e32 v10, v[10:11]
	v_mul_f32_e32 v11, v15, v16
	v_fma_f32 v11, v14, v17, -v11
	v_cvt_f64_f32_e32 v[14:15], v11
	v_mul_f64 v[14:15], v[14:15], s[0:1]
	v_cvt_f32_f64_e32 v11, v[14:15]
	ds_read2_b64 v[14:17], v58 offset0:148 offset1:203
	v_mad_u64_u32 v[6:7], s[6:7], s4, v8, v[6:7]
	v_add_u32_e32 v7, s2, v7
	global_store_dwordx2 v[6:7], v[10:11], off
	v_mad_u64_u32 v[6:7], s[6:7], s4, v8, v[6:7]
	v_add_u32_e32 v7, s2, v7
	s_waitcnt vmcnt(4) lgkmcnt(0)
	v_mul_f32_e32 v10, v19, v15
	v_fmac_f32_e32 v10, v18, v14
	v_cvt_f64_f32_e32 v[10:11], v10
	v_mul_f64 v[10:11], v[10:11], s[0:1]
	v_cvt_f32_f64_e32 v10, v[10:11]
	v_mul_f32_e32 v11, v19, v14
	v_fma_f32 v11, v18, v15, -v11
	scratch_load_dwordx2 v[18:19], off, off offset:136 ; 8-byte Folded Reload
	v_cvt_f64_f32_e32 v[14:15], v11
	v_mul_f64 v[14:15], v[14:15], s[0:1]
	v_cvt_f32_f64_e32 v11, v[14:15]
	global_store_dwordx2 v[6:7], v[10:11], off
	v_mad_u64_u32 v[6:7], s[6:7], s4, v8, v[6:7]
	v_add_u32_e32 v7, s2, v7
	s_waitcnt vmcnt(1)
	v_mul_f32_e32 v10, v19, v13
	v_fmac_f32_e32 v10, v18, v12
	v_cvt_f64_f32_e32 v[10:11], v10
	v_mul_f64 v[10:11], v[10:11], s[0:1]
	v_cvt_f32_f64_e32 v14, v[10:11]
	v_mul_f32_e32 v10, v19, v12
	v_fma_f32 v10, v18, v13, -v10
	scratch_load_dwordx2 v[18:19], off, off offset:144 ; 8-byte Folded Reload
	v_cvt_f64_f32_e32 v[10:11], v10
	v_mul_f64 v[10:11], v[10:11], s[0:1]
	v_cvt_f32_f64_e32 v15, v[10:11]
	ds_read2_b64 v[10:13], v56 offset0:186 offset1:241
	global_store_dwordx2 v[6:7], v[14:15], off
	v_mad_u64_u32 v[6:7], s[6:7], s4, v8, v[6:7]
	v_add_u32_e32 v7, s2, v7
	s_waitcnt vmcnt(1) lgkmcnt(0)
	v_mul_f32_e32 v14, v19, v11
	v_fmac_f32_e32 v14, v18, v10
	v_mul_f32_e32 v10, v19, v10
	v_fma_f32 v10, v18, v11, -v10
	v_cvt_f64_f32_e32 v[14:15], v14
	v_cvt_f64_f32_e32 v[10:11], v10
	v_mul_f64 v[14:15], v[14:15], s[0:1]
	v_mul_f64 v[10:11], v[10:11], s[0:1]
	v_cvt_f32_f64_e32 v14, v[14:15]
	v_cvt_f32_f64_e32 v15, v[10:11]
	global_store_dwordx2 v[6:7], v[14:15], off
	scratch_load_dwordx2 v[14:15], off, off offset:128 ; 8-byte Folded Reload
	v_mad_u64_u32 v[6:7], s[6:7], s4, v8, v[6:7]
	v_add_u32_e32 v7, s2, v7
	s_waitcnt vmcnt(0)
	v_mul_f32_e32 v10, v15, v21
	v_fmac_f32_e32 v10, v14, v20
	v_cvt_f64_f32_e32 v[10:11], v10
	v_mul_f64 v[10:11], v[10:11], s[0:1]
	v_cvt_f32_f64_e32 v10, v[10:11]
	v_mul_f32_e32 v11, v15, v20
	v_fma_f32 v11, v14, v21, -v11
	v_cvt_f64_f32_e32 v[14:15], v11
	v_mul_f64 v[14:15], v[14:15], s[0:1]
	v_cvt_f32_f64_e32 v11, v[14:15]
	scratch_load_dwordx2 v[14:15], off, off offset:120 ; 8-byte Folded Reload
	ds_read2_b64 v[18:21], v90 offset0:96 offset1:151
	global_store_dwordx2 v[6:7], v[10:11], off
	v_mad_u64_u32 v[6:7], s[6:7], s4, v8, v[6:7]
	v_add_u32_e32 v7, s2, v7
	s_waitcnt vmcnt(1) lgkmcnt(0)
	v_mul_f32_e32 v10, v15, v19
	v_fmac_f32_e32 v10, v14, v18
	v_cvt_f64_f32_e32 v[10:11], v10
	v_mul_f64 v[10:11], v[10:11], s[0:1]
	v_cvt_f32_f64_e32 v10, v[10:11]
	v_mul_f32_e32 v11, v15, v18
	v_fma_f32 v11, v14, v19, -v11
	v_cvt_f64_f32_e32 v[14:15], v11
	v_mul_f64 v[14:15], v[14:15], s[0:1]
	v_cvt_f32_f64_e32 v11, v[14:15]
	scratch_load_dwordx2 v[14:15], off, off offset:104 ; 8-byte Folded Reload
	scratch_load_dwordx2 v[18:19], off, off offset:80 ; 8-byte Folded Reload
	s_nop 0
	global_store_dwordx2 v[6:7], v[10:11], off
	v_mad_u64_u32 v[6:7], s[6:7], s4, v9, v[6:7]
	v_add_u32_e32 v7, s3, v7
	s_waitcnt vmcnt(2)
	v_mul_f32_e32 v10, v15, v25
	v_fmac_f32_e32 v10, v14, v24
	v_cvt_f64_f32_e32 v[10:11], v10
	v_mul_f64 v[10:11], v[10:11], s[0:1]
	v_cvt_f32_f64_e32 v10, v[10:11]
	v_mul_f32_e32 v11, v15, v24
	v_fma_f32 v11, v14, v25, -v11
	v_cvt_f64_f32_e32 v[14:15], v11
	v_mul_f64 v[14:15], v[14:15], s[0:1]
	v_cvt_f32_f64_e32 v11, v[14:15]
	scratch_load_dwordx2 v[14:15], off, off offset:96 ; 8-byte Folded Reload
	ds_read2_b64 v[22:25], v48 offset0:184 offset1:239
	global_store_dwordx2 v[6:7], v[10:11], off
	v_mad_u64_u32 v[6:7], s[6:7], s4, v8, v[6:7]
	v_add_u32_e32 v7, s2, v7
	s_waitcnt vmcnt(1) lgkmcnt(0)
	v_mul_f32_e32 v10, v15, v23
	v_fmac_f32_e32 v10, v14, v22
	v_cvt_f64_f32_e32 v[10:11], v10
	v_mul_f64 v[10:11], v[10:11], s[0:1]
	v_cvt_f32_f64_e32 v10, v[10:11]
	v_mul_f32_e32 v11, v15, v22
	v_fma_f32 v11, v14, v23, -v11
	v_cvt_f64_f32_e32 v[14:15], v11
	v_mul_f64 v[14:15], v[14:15], s[0:1]
	v_cvt_f32_f64_e32 v11, v[14:15]
	scratch_load_dwordx2 v[14:15], off, off offset:88 ; 8-byte Folded Reload
	s_nop 0
	global_store_dwordx2 v[6:7], v[10:11], off
	v_mad_u64_u32 v[6:7], s[6:7], s4, v8, v[6:7]
	v_add_u32_e32 v7, s2, v7
	s_waitcnt vmcnt(1)
	v_mul_f32_e32 v10, v15, v17
	v_fmac_f32_e32 v10, v14, v16
	v_cvt_f64_f32_e32 v[10:11], v10
	v_mul_f64 v[10:11], v[10:11], s[0:1]
	v_cvt_f32_f64_e32 v10, v[10:11]
	v_mul_f32_e32 v11, v15, v16
	v_fma_f32 v11, v14, v17, -v11
	v_cvt_f64_f32_e32 v[14:15], v11
	v_mul_f64 v[14:15], v[14:15], s[0:1]
	v_cvt_f32_f64_e32 v11, v[14:15]
	ds_read2_b64 v[14:17], v38 offset0:94 offset1:149
	global_store_dwordx2 v[6:7], v[10:11], off
	v_mad_u64_u32 v[6:7], s[6:7], s4, v8, v[6:7]
	v_add_u32_e32 v7, s2, v7
	s_waitcnt lgkmcnt(0)
	v_mul_f32_e32 v10, v19, v15
	v_fmac_f32_e32 v10, v18, v14
	v_cvt_f64_f32_e32 v[10:11], v10
	v_mul_f64 v[10:11], v[10:11], s[0:1]
	v_cvt_f32_f64_e32 v10, v[10:11]
	v_mul_f32_e32 v11, v19, v14
	v_fma_f32 v11, v18, v15, -v11
	scratch_load_dwordx2 v[18:19], off, off offset:72 ; 8-byte Folded Reload
	v_cvt_f64_f32_e32 v[14:15], v11
	v_mul_f64 v[14:15], v[14:15], s[0:1]
	v_cvt_f32_f64_e32 v11, v[14:15]
	global_store_dwordx2 v[6:7], v[10:11], off
	v_mad_u64_u32 v[6:7], s[6:7], s4, v8, v[6:7]
	v_add_u32_e32 v7, s2, v7
	s_waitcnt vmcnt(1)
	v_mul_f32_e32 v10, v19, v13
	v_fmac_f32_e32 v10, v18, v12
	v_cvt_f64_f32_e32 v[10:11], v10
	v_mul_f64 v[10:11], v[10:11], s[0:1]
	v_cvt_f32_f64_e32 v14, v[10:11]
	v_mul_f32_e32 v10, v19, v12
	v_fma_f32 v10, v18, v13, -v10
	scratch_load_dwordx2 v[18:19], off, off offset:64 ; 8-byte Folded Reload
	v_cvt_f64_f32_e32 v[10:11], v10
	v_mul_f64 v[10:11], v[10:11], s[0:1]
	v_cvt_f32_f64_e32 v15, v[10:11]
	ds_read2_b64 v[10:13], v37 offset0:4 offset1:59
	global_store_dwordx2 v[6:7], v[14:15], off
	v_mad_u64_u32 v[6:7], s[6:7], s4, v8, v[6:7]
	v_add_u32_e32 v7, s2, v7
	s_waitcnt vmcnt(1) lgkmcnt(0)
	v_mul_f32_e32 v14, v19, v11
	v_fmac_f32_e32 v14, v18, v10
	v_mul_f32_e32 v10, v19, v10
	v_fma_f32 v10, v18, v11, -v10
	v_cvt_f64_f32_e32 v[14:15], v14
	v_cvt_f64_f32_e32 v[10:11], v10
	v_mul_f64 v[14:15], v[14:15], s[0:1]
	v_mul_f64 v[10:11], v[10:11], s[0:1]
	v_cvt_f32_f64_e32 v14, v[14:15]
	v_cvt_f32_f64_e32 v15, v[10:11]
	global_store_dwordx2 v[6:7], v[14:15], off
	scratch_load_dwordx2 v[14:15], off, off offset:56 ; 8-byte Folded Reload
	v_mad_u64_u32 v[6:7], s[6:7], s4, v8, v[6:7]
	v_add_u32_e32 v7, s2, v7
	s_waitcnt vmcnt(0)
	v_mul_f32_e32 v10, v15, v21
	v_fmac_f32_e32 v10, v14, v20
	v_cvt_f64_f32_e32 v[10:11], v10
	v_mul_f64 v[10:11], v[10:11], s[0:1]
	v_cvt_f32_f64_e32 v10, v[10:11]
	v_mul_f32_e32 v11, v15, v20
	v_fma_f32 v11, v14, v21, -v11
	v_cvt_f64_f32_e32 v[14:15], v11
	v_mul_f64 v[14:15], v[14:15], s[0:1]
	v_cvt_f32_f64_e32 v11, v[14:15]
	scratch_load_dwordx2 v[14:15], off, off offset:48 ; 8-byte Folded Reload
	s_nop 0
	global_store_dwordx2 v[6:7], v[10:11], off
	s_waitcnt vmcnt(1)
	v_mul_f32_e32 v10, v15, v1
	v_fmac_f32_e32 v10, v14, v0
	v_mul_f32_e32 v0, v15, v0
	v_fma_f32 v0, v14, v1, -v0
	v_cvt_f64_f32_e32 v[10:11], v10
	v_cvt_f64_f32_e32 v[0:1], v0
	v_mul_f64 v[10:11], v[10:11], s[0:1]
	v_mul_f64 v[0:1], v[0:1], s[0:1]
	v_cvt_f32_f64_e32 v10, v[10:11]
	v_cvt_f32_f64_e32 v11, v[0:1]
	v_mad_u64_u32 v[0:1], s[6:7], s4, v9, v[6:7]
	v_add_u32_e32 v1, s3, v1
	global_store_dwordx2 v[0:1], v[10:11], off
	scratch_load_dwordx2 v[10:11], off, off offset:40 ; 8-byte Folded Reload
	v_mad_u64_u32 v[0:1], s[6:7], s4, v8, v[0:1]
	v_add_u32_e32 v1, s2, v1
	s_waitcnt vmcnt(0)
	v_mul_f32_e32 v6, v11, v25
	v_fmac_f32_e32 v6, v10, v24
	v_cvt_f64_f32_e32 v[6:7], v6
	v_mul_f64 v[6:7], v[6:7], s[0:1]
	v_cvt_f32_f64_e32 v6, v[6:7]
	v_mul_f32_e32 v7, v11, v24
	v_fma_f32 v7, v10, v25, -v7
	v_cvt_f64_f32_e32 v[10:11], v7
	v_mul_f64 v[10:11], v[10:11], s[0:1]
	v_cvt_f32_f64_e32 v7, v[10:11]
	scratch_load_dwordx2 v[10:11], off, off offset:32 ; 8-byte Folded Reload
	s_nop 0
	global_store_dwordx2 v[0:1], v[6:7], off
	v_mad_u64_u32 v[0:1], s[6:7], s4, v8, v[0:1]
	v_add_u32_e32 v1, s2, v1
	s_waitcnt vmcnt(1)
	v_mul_f32_e32 v6, v11, v3
	v_fmac_f32_e32 v6, v10, v2
	v_mul_f32_e32 v2, v11, v2
	v_fma_f32 v2, v10, v3, -v2
	v_cvt_f64_f32_e32 v[6:7], v6
	v_cvt_f64_f32_e32 v[2:3], v2
	v_mul_f64 v[6:7], v[6:7], s[0:1]
	v_mul_f64 v[2:3], v[2:3], s[0:1]
	v_cvt_f32_f64_e32 v6, v[6:7]
	v_cvt_f32_f64_e32 v7, v[2:3]
	global_store_dwordx2 v[0:1], v[6:7], off
	scratch_load_dwordx2 v[6:7], off, off offset:24 ; 8-byte Folded Reload
	v_mad_u64_u32 v[0:1], s[6:7], s4, v8, v[0:1]
	v_add_u32_e32 v1, s2, v1
	s_waitcnt vmcnt(0)
	v_mul_f32_e32 v2, v7, v17
	v_fmac_f32_e32 v2, v6, v16
	v_cvt_f64_f32_e32 v[2:3], v2
	v_mul_f64 v[2:3], v[2:3], s[0:1]
	v_cvt_f32_f64_e32 v2, v[2:3]
	v_mul_f32_e32 v3, v7, v16
	v_fma_f32 v3, v6, v17, -v3
	v_cvt_f64_f32_e32 v[6:7], v3
	v_mul_f64 v[6:7], v[6:7], s[0:1]
	v_cvt_f32_f64_e32 v3, v[6:7]
	scratch_load_dwordx2 v[6:7], off, off offset:16 ; 8-byte Folded Reload
	s_nop 0
	global_store_dwordx2 v[0:1], v[2:3], off
	v_mad_u64_u32 v[0:1], s[6:7], s4, v8, v[0:1]
	v_add_u32_e32 v1, s2, v1
	s_waitcnt vmcnt(1)
	v_mul_f32_e32 v2, v7, v5
	v_fmac_f32_e32 v2, v6, v4
	v_cvt_f64_f32_e32 v[2:3], v2
	v_mul_f64 v[2:3], v[2:3], s[0:1]
	v_cvt_f32_f64_e32 v2, v[2:3]
	v_mul_f32_e32 v3, v7, v4
	v_fma_f32 v3, v6, v5, -v3
	v_cvt_f64_f32_e32 v[4:5], v3
	v_mul_f64 v[4:5], v[4:5], s[0:1]
	v_cvt_f32_f64_e32 v3, v[4:5]
	scratch_load_dwordx2 v[4:5], off, off offset:8 ; 8-byte Folded Reload
	scratch_load_dwordx2 v[6:7], off, off   ; 8-byte Folded Reload
	s_nop 0
	global_store_dwordx2 v[0:1], v[2:3], off
	v_mad_u64_u32 v[0:1], s[6:7], s4, v8, v[0:1]
	v_add_u32_e32 v1, s2, v1
	s_waitcnt vmcnt(2)
	v_mul_f32_e32 v2, v5, v13
	v_fmac_f32_e32 v2, v4, v12
	v_cvt_f64_f32_e32 v[2:3], v2
	v_mul_f64 v[2:3], v[2:3], s[0:1]
	v_cvt_f32_f64_e32 v2, v[2:3]
	v_mul_f32_e32 v3, v5, v12
	v_fma_f32 v3, v4, v13, -v3
	v_cvt_f64_f32_e32 v[4:5], v3
	v_mul_f64 v[4:5], v[4:5], s[0:1]
	v_cvt_f32_f64_e32 v3, v[4:5]
	ds_read_b64 v[4:5], v36 offset:14960
	global_store_dwordx2 v[0:1], v[2:3], off
	s_waitcnt vmcnt(2) lgkmcnt(0)
	v_mul_f32_e32 v2, v7, v5
	v_fmac_f32_e32 v2, v6, v4
	v_cvt_f64_f32_e32 v[2:3], v2
	v_mul_f64 v[2:3], v[2:3], s[0:1]
	v_cvt_f32_f64_e32 v2, v[2:3]
	v_mul_f32_e32 v3, v7, v4
	v_fma_f32 v3, v6, v5, -v3
	v_cvt_f64_f32_e32 v[4:5], v3
	v_mul_f64 v[4:5], v[4:5], s[0:1]
	v_mad_u64_u32 v[0:1], s[0:1], s4, v8, v[0:1]
	v_cvt_f32_f64_e32 v3, v[4:5]
	v_add_u32_e32 v1, s2, v1
	global_store_dwordx2 v[0:1], v[2:3], off
.LBB0_10:
	s_endpgm
	.section	.rodata,"a",@progbits
	.p2align	6, 0x0
	.amdhsa_kernel bluestein_single_fwd_len1925_dim1_sp_op_CI_CI
		.amdhsa_group_segment_fixed_size 15400
		.amdhsa_private_segment_fixed_size 156
		.amdhsa_kernarg_size 104
		.amdhsa_user_sgpr_count 2
		.amdhsa_user_sgpr_dispatch_ptr 0
		.amdhsa_user_sgpr_queue_ptr 0
		.amdhsa_user_sgpr_kernarg_segment_ptr 1
		.amdhsa_user_sgpr_dispatch_id 0
		.amdhsa_user_sgpr_kernarg_preload_length 0
		.amdhsa_user_sgpr_kernarg_preload_offset 0
		.amdhsa_user_sgpr_private_segment_size 0
		.amdhsa_uses_dynamic_stack 0
		.amdhsa_enable_private_segment 1
		.amdhsa_system_sgpr_workgroup_id_x 1
		.amdhsa_system_sgpr_workgroup_id_y 0
		.amdhsa_system_sgpr_workgroup_id_z 0
		.amdhsa_system_sgpr_workgroup_info 0
		.amdhsa_system_vgpr_workitem_id 0
		.amdhsa_next_free_vgpr 512
		.amdhsa_next_free_sgpr 48
		.amdhsa_accum_offset 256
		.amdhsa_reserve_vcc 1
		.amdhsa_float_round_mode_32 0
		.amdhsa_float_round_mode_16_64 0
		.amdhsa_float_denorm_mode_32 3
		.amdhsa_float_denorm_mode_16_64 3
		.amdhsa_dx10_clamp 1
		.amdhsa_ieee_mode 1
		.amdhsa_fp16_overflow 0
		.amdhsa_tg_split 0
		.amdhsa_exception_fp_ieee_invalid_op 0
		.amdhsa_exception_fp_denorm_src 0
		.amdhsa_exception_fp_ieee_div_zero 0
		.amdhsa_exception_fp_ieee_overflow 0
		.amdhsa_exception_fp_ieee_underflow 0
		.amdhsa_exception_fp_ieee_inexact 0
		.amdhsa_exception_int_div_zero 0
	.end_amdhsa_kernel
	.text
.Lfunc_end0:
	.size	bluestein_single_fwd_len1925_dim1_sp_op_CI_CI, .Lfunc_end0-bluestein_single_fwd_len1925_dim1_sp_op_CI_CI
                                        ; -- End function
	.section	.AMDGPU.csdata,"",@progbits
; Kernel info:
; codeLenInByte = 49060
; NumSgprs: 54
; NumVgprs: 256
; NumAgprs: 256
; TotalNumVgprs: 512
; ScratchSize: 156
; MemoryBound: 0
; FloatMode: 240
; IeeeMode: 1
; LDSByteSize: 15400 bytes/workgroup (compile time only)
; SGPRBlocks: 6
; VGPRBlocks: 63
; NumSGPRsForWavesPerEU: 54
; NumVGPRsForWavesPerEU: 512
; AccumOffset: 256
; Occupancy: 1
; WaveLimiterHint : 1
; COMPUTE_PGM_RSRC2:SCRATCH_EN: 1
; COMPUTE_PGM_RSRC2:USER_SGPR: 2
; COMPUTE_PGM_RSRC2:TRAP_HANDLER: 0
; COMPUTE_PGM_RSRC2:TGID_X_EN: 1
; COMPUTE_PGM_RSRC2:TGID_Y_EN: 0
; COMPUTE_PGM_RSRC2:TGID_Z_EN: 0
; COMPUTE_PGM_RSRC2:TIDIG_COMP_CNT: 0
; COMPUTE_PGM_RSRC3_GFX90A:ACCUM_OFFSET: 63
; COMPUTE_PGM_RSRC3_GFX90A:TG_SPLIT: 0
	.text
	.p2alignl 6, 3212836864
	.fill 256, 4, 3212836864
	.type	__hip_cuid_ce19ab9cc13f09e,@object ; @__hip_cuid_ce19ab9cc13f09e
	.section	.bss,"aw",@nobits
	.globl	__hip_cuid_ce19ab9cc13f09e
__hip_cuid_ce19ab9cc13f09e:
	.byte	0                               ; 0x0
	.size	__hip_cuid_ce19ab9cc13f09e, 1

	.ident	"AMD clang version 19.0.0git (https://github.com/RadeonOpenCompute/llvm-project roc-6.4.0 25133 c7fe45cf4b819c5991fe208aaa96edf142730f1d)"
	.section	".note.GNU-stack","",@progbits
	.addrsig
	.addrsig_sym __hip_cuid_ce19ab9cc13f09e
	.amdgpu_metadata
---
amdhsa.kernels:
  - .agpr_count:     256
    .args:
      - .actual_access:  read_only
        .address_space:  global
        .offset:         0
        .size:           8
        .value_kind:     global_buffer
      - .actual_access:  read_only
        .address_space:  global
        .offset:         8
        .size:           8
        .value_kind:     global_buffer
      - .actual_access:  read_only
        .address_space:  global
        .offset:         16
        .size:           8
        .value_kind:     global_buffer
      - .actual_access:  read_only
        .address_space:  global
        .offset:         24
        .size:           8
        .value_kind:     global_buffer
      - .actual_access:  read_only
        .address_space:  global
        .offset:         32
        .size:           8
        .value_kind:     global_buffer
      - .offset:         40
        .size:           8
        .value_kind:     by_value
      - .address_space:  global
        .offset:         48
        .size:           8
        .value_kind:     global_buffer
      - .address_space:  global
        .offset:         56
        .size:           8
        .value_kind:     global_buffer
      - .address_space:  global
        .offset:         64
        .size:           8
        .value_kind:     global_buffer
      - .address_space:  global
        .offset:         72
        .size:           8
        .value_kind:     global_buffer
      - .offset:         80
        .size:           4
        .value_kind:     by_value
      - .address_space:  global
        .offset:         88
        .size:           8
        .value_kind:     global_buffer
      - .address_space:  global
        .offset:         96
        .size:           8
        .value_kind:     global_buffer
    .group_segment_fixed_size: 15400
    .kernarg_segment_align: 8
    .kernarg_segment_size: 104
    .language:       OpenCL C
    .language_version:
      - 2
      - 0
    .max_flat_workgroup_size: 55
    .name:           bluestein_single_fwd_len1925_dim1_sp_op_CI_CI
    .private_segment_fixed_size: 156
    .sgpr_count:     54
    .sgpr_spill_count: 0
    .symbol:         bluestein_single_fwd_len1925_dim1_sp_op_CI_CI.kd
    .uniform_work_group_size: 1
    .uses_dynamic_stack: false
    .vgpr_count:     512
    .vgpr_spill_count: 72
    .wavefront_size: 64
amdhsa.target:   amdgcn-amd-amdhsa--gfx950
amdhsa.version:
  - 1
  - 2
...

	.end_amdgpu_metadata
